;; amdgpu-corpus repo=ROCm/rocFFT kind=compiled arch=gfx950 opt=O3
	.text
	.amdgcn_target "amdgcn-amd-amdhsa--gfx950"
	.amdhsa_code_object_version 6
	.protected	bluestein_single_back_len352_dim1_sp_op_CI_CI ; -- Begin function bluestein_single_back_len352_dim1_sp_op_CI_CI
	.globl	bluestein_single_back_len352_dim1_sp_op_CI_CI
	.p2align	8
	.type	bluestein_single_back_len352_dim1_sp_op_CI_CI,@function
bluestein_single_back_len352_dim1_sp_op_CI_CI: ; @bluestein_single_back_len352_dim1_sp_op_CI_CI
; %bb.0:
	s_load_dwordx4 s[12:15], s[0:1], 0x28
	v_lshrrev_b32_e32 v1, 5, v0
	v_mov_b32_e32 v81, 0
	v_lshl_or_b32 v78, s2, 1, v1
	v_mov_b32_e32 v79, v81
	s_waitcnt lgkmcnt(0)
	v_cmp_gt_u64_e32 vcc, s[12:13], v[78:79]
	s_and_saveexec_b64 s[2:3], vcc
	s_cbranch_execz .LBB0_18
; %bb.1:
	s_load_dwordx4 s[4:7], s[0:1], 0x18
	s_load_dwordx4 s[8:11], s[0:1], 0x0
	v_and_b32_e32 v79, 31, v0
	v_mov_b32_e32 v2, s14
	v_mov_b32_e32 v3, s15
	s_waitcnt lgkmcnt(0)
	s_load_dwordx4 s[16:19], s[4:5], 0x0
	v_lshlrev_b32_e32 v80, 3, v79
	v_and_b32_e32 v0, 32, v0
	v_mov_b32_e32 v1, 0x160
	v_cmp_ne_u32_e32 vcc, 0, v0
	s_waitcnt lgkmcnt(0)
	v_mad_u64_u32 v[4:5], s[2:3], s18, v78, 0
	v_mov_b32_e32 v8, v5
	v_mad_u64_u32 v[6:7], s[2:3], s16, v79, 0
	v_mad_u64_u32 v[8:9], s[2:3], s19, v78, v[8:9]
	v_mov_b32_e32 v5, v8
	v_mov_b32_e32 v8, v7
	v_mad_u64_u32 v[8:9], s[2:3], s17, v79, v[8:9]
	v_mov_b32_e32 v7, v8
	v_lshl_add_u64 v[2:3], v[4:5], 3, v[2:3]
	v_lshl_add_u64 v[2:3], v[6:7], 3, v[2:3]
	s_lshl_b64 s[2:3], s[16:17], 8
	global_load_dwordx2 v[76:77], v80, s[8:9]
	global_load_dwordx2 v[4:5], v[2:3], off
	v_lshl_add_u64 v[2:3], v[2:3], 0, s[2:3]
	global_load_dwordx2 v[6:7], v[2:3], off
	global_load_dwordx2 v[74:75], v80, s[8:9] offset:256
	v_lshl_add_u64 v[2:3], v[2:3], 0, s[2:3]
	global_load_dwordx2 v[72:73], v80, s[8:9] offset:512
	global_load_dwordx2 v[8:9], v[2:3], off
	v_lshl_add_u64 v[2:3], v[2:3], 0, s[2:3]
	global_load_dwordx2 v[10:11], v[2:3], off
	global_load_dwordx2 v[68:69], v80, s[8:9] offset:768
	v_lshl_add_u64 v[2:3], v[2:3], 0, s[2:3]
	global_load_dwordx2 v[12:13], v[2:3], off
	global_load_dwordx2 v[66:67], v80, s[8:9] offset:1024
	;; [unrolled: 3-line block ×4, first 2 shown]
	global_load_dwordx2 v[62:63], v80, s[8:9] offset:1792
	v_lshl_add_u64 v[2:3], v[2:3], 0, s[2:3]
	global_load_dwordx2 v[18:19], v[2:3], off
	v_lshl_add_u64 v[2:3], v[2:3], 0, s[2:3]
	global_load_dwordx2 v[20:21], v[2:3], off
	global_load_dwordx2 v[58:59], v80, s[8:9] offset:2048
	v_lshl_add_u64 v[2:3], v[2:3], 0, s[2:3]
	global_load_dwordx2 v[22:23], v[2:3], off
	global_load_dwordx2 v[60:61], v80, s[8:9] offset:2304
	global_load_dwordx2 v[56:57], v80, s[8:9] offset:2560
	v_lshl_add_u64 v[2:3], v[2:3], 0, s[2:3]
	global_load_dwordx2 v[2:3], v[2:3], off
	v_cndmask_b32_e32 v119, 0, v1, vcc
	v_or_b32_e32 v0, v119, v79
	v_lshlrev_b32_e32 v117, 3, v0
	v_lshl_or_b32 v116, v119, 3, v80
	v_add_u32_e32 v26, 0x400, v116
	v_add_u32_e32 v27, 0x800, v116
	s_load_dwordx4 s[4:7], s[6:7], 0x0
	s_mov_b32 s22, 0xbf0a6770
	s_mov_b32 s12, 0x3f575c64
	;; [unrolled: 1-line block ×12, first 2 shown]
	s_waitcnt vmcnt(20)
	v_mul_f32_e32 v0, v5, v77
	v_mul_f32_e32 v1, v4, v77
	v_fmac_f32_e32 v0, v4, v76
	v_fma_f32 v1, v5, v76, -v1
	s_waitcnt vmcnt(18)
	v_mul_f32_e32 v4, v7, v75
	v_mul_f32_e32 v5, v6, v75
	ds_write_b64 v117, v[0:1]
	s_waitcnt vmcnt(16)
	v_mul_f32_e32 v0, v9, v73
	v_mul_f32_e32 v1, v8, v73
	v_fmac_f32_e32 v4, v6, v74
	v_fma_f32 v5, v7, v74, -v5
	v_fmac_f32_e32 v0, v8, v72
	v_fma_f32 v1, v9, v72, -v1
	s_waitcnt vmcnt(14)
	v_mul_f32_e32 v6, v11, v69
	v_mul_f32_e32 v7, v10, v69
	ds_write2_b64 v116, v[4:5], v[0:1] offset0:32 offset1:64
	s_waitcnt vmcnt(12)
	v_mul_f32_e32 v0, v13, v67
	v_mul_f32_e32 v1, v12, v67
	v_fmac_f32_e32 v6, v10, v68
	v_fma_f32 v7, v11, v68, -v7
	v_fmac_f32_e32 v0, v12, v66
	v_fma_f32 v1, v13, v66, -v1
	s_waitcnt vmcnt(10)
	v_mul_f32_e32 v4, v15, v71
	v_mul_f32_e32 v5, v14, v71
	ds_write2_b64 v116, v[6:7], v[0:1] offset0:96 offset1:128
	;; [unrolled: 11-line block ×4, first 2 shown]
	s_waitcnt vmcnt(0)
	v_mul_f32_e32 v0, v3, v57
	v_mul_f32_e32 v1, v2, v57
	v_fmac_f32_e32 v4, v22, v60
	v_fma_f32 v5, v23, v60, -v5
	v_fmac_f32_e32 v0, v2, v56
	v_fma_f32 v1, v3, v56, -v1
	ds_write2_b64 v27, v[4:5], v[0:1] offset0:32 offset1:64
	s_waitcnt lgkmcnt(0)
	; wave barrier
	s_waitcnt lgkmcnt(0)
	ds_read2_b64 v[4:7], v116 offset0:96 offset1:128
	ds_read2_b64 v[8:11], v26 offset0:96 offset1:128
	ds_read_b64 v[2:3], v117
	ds_read2_b64 v[12:15], v116 offset0:32 offset1:64
	ds_read2_b64 v[16:19], v116 offset0:160 offset1:192
	s_waitcnt lgkmcnt(3)
	v_pk_add_f32 v[0:1], v[10:11], v[4:5]
	v_pk_add_f32 v[20:21], v[4:5], v[10:11] neg_lo:[0,1] neg_hi:[0,1]
	s_waitcnt lgkmcnt(1)
	v_pk_add_f32 v[28:29], v[2:3], v[12:13]
	v_pk_add_f32 v[22:23], v[8:9], v[6:7]
	;; [unrolled: 1-line block ×3, first 2 shown]
	v_pk_add_f32 v[24:25], v[6:7], v[8:9] neg_lo:[0,1] neg_hi:[0,1]
	v_pk_add_f32 v[4:5], v[28:29], v[4:5]
	s_nop 0
	v_pk_add_f32 v[28:29], v[4:5], v[6:7]
	ds_read2_b64 v[4:7], v27 offset0:32 offset1:64
	s_waitcnt lgkmcnt(1)
	v_pk_add_f32 v[28:29], v[28:29], v[16:17]
	v_mul_u32_u24_e32 v27, 11, v79
	v_pk_add_f32 v[28:29], v[28:29], v[18:19]
	v_add_lshl_u32 v118, v119, v27, 3
	v_pk_add_f32 v[8:9], v[28:29], v[8:9]
	s_waitcnt lgkmcnt(0)
	v_pk_add_f32 v[28:29], v[4:5], v[14:15]
	v_pk_add_f32 v[8:9], v[8:9], v[10:11]
	v_pk_add_f32 v[10:11], v[6:7], v[12:13]
	v_pk_add_f32 v[12:13], v[12:13], v[6:7] neg_lo:[0,1] neg_hi:[0,1]
	v_pk_add_f32 v[14:15], v[14:15], v[4:5] neg_lo:[0,1] neg_hi:[0,1]
	v_pk_add_f32 v[4:5], v[8:9], v[4:5]
	v_pk_add_f32 v[8:9], v[18:19], v[16:17]
	;; [unrolled: 1-line block ×3, first 2 shown]
	v_pk_mul_f32 v[6:7], v[12:13], s[22:23] op_sel_hi:[1,0]
	v_pk_add_f32 v[16:17], v[16:17], v[18:19] neg_lo:[0,1] neg_hi:[0,1]
	v_pk_fma_f32 v[18:19], v[10:11], s[12:13], v[6:7] op_sel:[0,0,1] op_sel_hi:[1,0,0]
	v_pk_fma_f32 v[6:7], v[10:11], s[12:13], v[6:7] op_sel:[0,0,1] op_sel_hi:[1,0,0] neg_lo:[0,0,1] neg_hi:[0,0,1]
	v_pk_mul_f32 v[30:31], v[14:15], s[28:29] op_sel_hi:[1,0]
	v_mov_b32_e32 v35, v7
	v_pk_fma_f32 v[32:33], v[28:29], s[2:3], v[30:31] op_sel:[0,0,1] op_sel_hi:[1,0,0]
	v_pk_fma_f32 v[30:31], v[28:29], s[2:3], v[30:31] op_sel:[0,0,1] op_sel_hi:[1,0,0] neg_lo:[0,0,1] neg_hi:[0,0,1]
	v_mov_b32_e32 v7, v19
	v_pk_add_f32 v[6:7], v[2:3], v[6:7]
	v_mov_b32_e32 v19, v31
	v_mov_b32_e32 v31, v33
	v_pk_add_f32 v[6:7], v[30:31], v[6:7]
	v_pk_mul_f32 v[30:31], v[20:21], s[16:17] op_sel_hi:[1,0]
	s_nop 0
	v_pk_fma_f32 v[36:37], v[0:1], s[14:15], v[30:31] op_sel:[0,0,1] op_sel_hi:[1,0,0]
	v_pk_fma_f32 v[30:31], v[0:1], s[14:15], v[30:31] op_sel:[0,0,1] op_sel_hi:[1,0,0] neg_lo:[0,0,1] neg_hi:[0,0,1]
	; wave barrier
	s_nop 0
	v_mov_b32_e32 v33, v31
	v_mov_b32_e32 v31, v37
	v_pk_add_f32 v[6:7], v[30:31], v[6:7]
	v_pk_mul_f32 v[30:31], v[24:25], s[20:21] op_sel_hi:[1,0]
	v_pk_mul_f32 v[42:43], v[14:15], s[20:21] op_sel_hi:[1,0]
	v_pk_fma_f32 v[38:39], v[22:23], s[18:19], v[30:31] op_sel:[0,0,1] op_sel_hi:[1,0,0]
	v_pk_fma_f32 v[30:31], v[22:23], s[18:19], v[30:31] op_sel:[0,0,1] op_sel_hi:[1,0,0] neg_lo:[0,0,1] neg_hi:[0,0,1]
	v_pk_fma_f32 v[44:45], v[28:29], s[18:19], v[42:43] op_sel:[0,0,1] op_sel_hi:[1,0,0] neg_lo:[0,0,1] neg_hi:[0,0,1]
	v_mov_b32_e32 v37, v31
	v_mov_b32_e32 v31, v39
	v_pk_add_f32 v[6:7], v[30:31], v[6:7]
	v_pk_mul_f32 v[30:31], v[16:17], s[26:27] op_sel_hi:[1,0]
	v_pk_fma_f32 v[42:43], v[28:29], s[18:19], v[42:43] op_sel:[0,0,1] op_sel_hi:[1,0,0]
	v_pk_fma_f32 v[40:41], v[8:9], s[24:25], v[30:31] op_sel:[0,0,1] op_sel_hi:[1,0,0]
	v_pk_fma_f32 v[30:31], v[8:9], s[24:25], v[30:31] op_sel:[0,0,1] op_sel_hi:[1,0,0] neg_lo:[0,0,1] neg_hi:[0,0,1]
	v_mov_b32_e32 v46, v44
	v_mov_b32_e32 v39, v31
	;; [unrolled: 1-line block ×3, first 2 shown]
	v_pk_add_f32 v[6:7], v[30:31], v[6:7]
	ds_write2_b64 v118, v[4:5], v[6:7] offset1:1
	v_pk_mul_f32 v[4:5], v[12:13], s[28:29] op_sel_hi:[1,0]
	v_mov_b32_e32 v47, v43
	v_pk_fma_f32 v[6:7], v[10:11], s[2:3], v[4:5] op_sel:[0,0,1] op_sel_hi:[1,0,0] neg_lo:[0,0,1] neg_hi:[0,0,1]
	v_pk_fma_f32 v[4:5], v[10:11], s[2:3], v[4:5] op_sel:[0,0,1] op_sel_hi:[1,0,0]
	v_mov_b32_e32 v30, v6
	v_mov_b32_e32 v31, v5
	v_pk_add_f32 v[30:31], v[2:3], v[30:31]
	s_mov_b32 s28, 0x3e903f40
	v_pk_add_f32 v[30:31], v[46:47], v[30:31]
	v_pk_mul_f32 v[46:47], v[20:21], s[28:29] op_sel_hi:[1,0]
	v_pk_mul_f32 v[90:91], v[14:15], s[28:29] op_sel_hi:[1,0]
	v_pk_fma_f32 v[48:49], v[0:1], s[24:25], v[46:47] op_sel:[0,0,1] op_sel_hi:[1,0,0] neg_lo:[0,0,1] neg_hi:[0,0,1]
	v_pk_fma_f32 v[46:47], v[0:1], s[24:25], v[46:47] op_sel:[0,0,1] op_sel_hi:[1,0,0]
	v_mov_b32_e32 v50, v48
	v_mov_b32_e32 v51, v47
	v_pk_add_f32 v[30:31], v[50:51], v[30:31]
	v_pk_mul_f32 v[50:51], v[24:25], s[30:31] op_sel_hi:[1,0]
	v_pk_fma_f32 v[92:93], v[28:29], s[24:25], v[90:91] op_sel:[0,0,1] op_sel_hi:[1,0,0] neg_lo:[0,0,1] neg_hi:[0,0,1]
	v_pk_fma_f32 v[52:53], v[22:23], s[14:15], v[50:51] op_sel:[0,0,1] op_sel_hi:[1,0,0] neg_lo:[0,0,1] neg_hi:[0,0,1]
	v_pk_fma_f32 v[50:51], v[22:23], s[14:15], v[50:51] op_sel:[0,0,1] op_sel_hi:[1,0,0]
	v_mov_b32_e32 v54, v52
	v_mov_b32_e32 v55, v51
	v_pk_add_f32 v[30:31], v[54:55], v[30:31]
	v_pk_mul_f32 v[54:55], v[16:17], s[34:35] op_sel_hi:[1,0]
	v_pk_fma_f32 v[90:91], v[28:29], s[24:25], v[90:91] op_sel:[0,0,1] op_sel_hi:[1,0,0]
	v_pk_fma_f32 v[82:83], v[8:9], s[12:13], v[54:55] op_sel:[0,0,1] op_sel_hi:[1,0,0] neg_lo:[0,0,1] neg_hi:[0,0,1]
	v_pk_fma_f32 v[54:55], v[8:9], s[12:13], v[54:55] op_sel:[0,0,1] op_sel_hi:[1,0,0]
	v_mov_b32_e32 v84, v82
	v_mov_b32_e32 v85, v55
	v_pk_add_f32 v[30:31], v[84:85], v[30:31]
	v_pk_mul_f32 v[84:85], v[12:13], s[16:17] op_sel_hi:[1,0]
	v_mov_b32_e32 v94, v92
	v_pk_fma_f32 v[86:87], v[10:11], s[14:15], v[84:85] op_sel:[0,0,1] op_sel_hi:[1,0,0] neg_lo:[0,0,1] neg_hi:[0,0,1]
	v_pk_fma_f32 v[84:85], v[10:11], s[14:15], v[84:85] op_sel:[0,0,1] op_sel_hi:[1,0,0]
	v_mov_b32_e32 v88, v86
	v_mov_b32_e32 v89, v85
	v_pk_add_f32 v[88:89], v[2:3], v[88:89]
	v_mov_b32_e32 v95, v91
	s_mov_b32 s28, 0x3f68dda4
	v_pk_add_f32 v[88:89], v[94:95], v[88:89]
	v_pk_mul_f32 v[94:95], v[20:21], s[28:29] op_sel_hi:[1,0]
	v_pk_mul_f32 v[108:109], v[14:15], s[30:31] op_sel_hi:[1,0]
	v_pk_fma_f32 v[96:97], v[0:1], s[2:3], v[94:95] op_sel:[0,0,1] op_sel_hi:[1,0,0] neg_lo:[0,0,1] neg_hi:[0,0,1]
	v_pk_fma_f32 v[94:95], v[0:1], s[2:3], v[94:95] op_sel:[0,0,1] op_sel_hi:[1,0,0]
	v_mov_b32_e32 v98, v96
	v_mov_b32_e32 v99, v95
	v_pk_add_f32 v[88:89], v[98:99], v[88:89]
	v_pk_mul_f32 v[98:99], v[24:25], s[22:23] op_sel_hi:[1,0]
	v_pk_fma_f32 v[110:111], v[28:29], s[14:15], v[108:109] op_sel:[0,0,1] op_sel_hi:[1,0,0] neg_lo:[0,0,1] neg_hi:[0,0,1]
	v_pk_fma_f32 v[100:101], v[22:23], s[12:13], v[98:99] op_sel:[0,0,1] op_sel_hi:[1,0,0] neg_lo:[0,0,1] neg_hi:[0,0,1]
	v_pk_fma_f32 v[98:99], v[22:23], s[12:13], v[98:99] op_sel:[0,0,1] op_sel_hi:[1,0,0]
	v_mov_b32_e32 v102, v100
	v_mov_b32_e32 v103, v99
	v_pk_add_f32 v[88:89], v[102:103], v[88:89]
	v_pk_mul_f32 v[102:103], v[16:17], s[20:21] op_sel_hi:[1,0]
	v_pk_fma_f32 v[108:109], v[28:29], s[14:15], v[108:109] op_sel:[0,0,1] op_sel_hi:[1,0,0]
	v_pk_fma_f32 v[104:105], v[8:9], s[18:19], v[102:103] op_sel:[0,0,1] op_sel_hi:[1,0,0] neg_lo:[0,0,1] neg_hi:[0,0,1]
	v_pk_fma_f32 v[102:103], v[8:9], s[18:19], v[102:103] op_sel:[0,0,1] op_sel_hi:[1,0,0]
	v_mov_b32_e32 v106, v104
	v_mov_b32_e32 v107, v103
	v_pk_add_f32 v[88:89], v[106:107], v[88:89]
	ds_write2_b64 v118, v[30:31], v[88:89] offset0:2 offset1:3
	v_pk_mul_f32 v[30:31], v[12:13], s[20:21] op_sel_hi:[1,0]
	v_mov_b32_e32 v112, v110
	v_pk_fma_f32 v[88:89], v[10:11], s[18:19], v[30:31] op_sel:[0,0,1] op_sel_hi:[1,0,0] neg_lo:[0,0,1] neg_hi:[0,0,1]
	v_pk_fma_f32 v[30:31], v[10:11], s[18:19], v[30:31] op_sel:[0,0,1] op_sel_hi:[1,0,0]
	v_mov_b32_e32 v106, v88
	v_mov_b32_e32 v107, v31
	v_pk_add_f32 v[106:107], v[2:3], v[106:107]
	v_mov_b32_e32 v113, v109
	v_pk_add_f32 v[106:107], v[112:113], v[106:107]
	v_pk_mul_f32 v[112:113], v[20:21], s[22:23] op_sel_hi:[1,0]
	v_pk_mul_f32 v[12:13], v[12:13], s[26:27] op_sel_hi:[1,0]
	v_pk_fma_f32 v[114:115], v[0:1], s[12:13], v[112:113] op_sel:[0,0,1] op_sel_hi:[1,0,0] neg_lo:[0,0,1] neg_hi:[0,0,1]
	v_pk_fma_f32 v[112:113], v[0:1], s[12:13], v[112:113] op_sel:[0,0,1] op_sel_hi:[1,0,0]
	v_mov_b32_e32 v120, v114
	v_mov_b32_e32 v121, v113
	v_pk_add_f32 v[106:107], v[120:121], v[106:107]
	v_pk_mul_f32 v[120:121], v[24:25], s[26:27] op_sel_hi:[1,0]
	v_pk_mul_f32 v[20:21], v[20:21], s[20:21] op_sel_hi:[1,0]
	v_pk_fma_f32 v[122:123], v[22:23], s[24:25], v[120:121] op_sel:[0,0,1] op_sel_hi:[1,0,0] neg_lo:[0,0,1] neg_hi:[0,0,1]
	v_pk_fma_f32 v[120:121], v[22:23], s[24:25], v[120:121] op_sel:[0,0,1] op_sel_hi:[1,0,0]
	v_mov_b32_e32 v124, v122
	;; [unrolled: 7-line block ×3, first 2 shown]
	v_mov_b32_e32 v129, v125
	v_pk_add_f32 v[106:107], v[128:129], v[106:107]
	v_pk_fma_f32 v[128:129], v[10:11], s[24:25], v[12:13] op_sel:[0,0,1] op_sel_hi:[1,0,0] neg_lo:[0,0,1] neg_hi:[0,0,1]
	v_pk_fma_f32 v[10:11], v[10:11], s[24:25], v[12:13] op_sel:[0,0,1] op_sel_hi:[1,0,0]
	v_pk_mul_f32 v[12:13], v[14:15], s[34:35] op_sel_hi:[1,0]
	v_pk_mul_f32 v[16:17], v[16:17], s[16:17] op_sel_hi:[1,0]
	v_pk_fma_f32 v[14:15], v[28:29], s[12:13], v[12:13] op_sel:[0,0,1] op_sel_hi:[1,0,0] neg_lo:[0,0,1] neg_hi:[0,0,1]
	v_pk_fma_f32 v[12:13], v[28:29], s[12:13], v[12:13] op_sel:[0,0,1] op_sel_hi:[1,0,0]
	v_mov_b32_e32 v28, v128
	v_mov_b32_e32 v29, v11
	v_pk_add_f32 v[28:29], v[2:3], v[28:29]
	v_mov_b32_e32 v130, v14
	v_mov_b32_e32 v131, v13
	v_pk_add_f32 v[28:29], v[130:131], v[28:29]
	v_pk_fma_f32 v[130:131], v[0:1], s[18:19], v[20:21] op_sel:[0,0,1] op_sel_hi:[1,0,0] neg_lo:[0,0,1] neg_hi:[0,0,1]
	v_pk_fma_f32 v[0:1], v[0:1], s[18:19], v[20:21] op_sel:[0,0,1] op_sel_hi:[1,0,0]
	v_mov_b32_e32 v20, v130
	v_mov_b32_e32 v21, v1
	v_mov_b32_e32 v11, v129
	v_pk_add_f32 v[20:21], v[20:21], v[28:29]
	v_pk_fma_f32 v[28:29], v[22:23], s[2:3], v[24:25] op_sel:[0,0,1] op_sel_hi:[1,0,0] neg_lo:[0,0,1] neg_hi:[0,0,1]
	v_pk_fma_f32 v[22:23], v[22:23], s[2:3], v[24:25] op_sel:[0,0,1] op_sel_hi:[1,0,0]
	v_mov_b32_e32 v13, v15
	v_pk_add_f32 v[10:11], v[2:3], v[10:11]
	v_mov_b32_e32 v24, v28
	v_mov_b32_e32 v25, v23
	v_pk_add_f32 v[10:11], v[12:13], v[10:11]
	v_mov_b32_e32 v1, v131
	v_pk_add_f32 v[20:21], v[24:25], v[20:21]
	v_pk_fma_f32 v[24:25], v[8:9], s[14:15], v[16:17] op_sel:[0,0,1] op_sel_hi:[1,0,0] neg_lo:[0,0,1] neg_hi:[0,0,1]
	v_pk_fma_f32 v[8:9], v[8:9], s[14:15], v[16:17] op_sel:[0,0,1] op_sel_hi:[1,0,0]
	v_pk_add_f32 v[0:1], v[0:1], v[10:11]
	v_mov_b32_e32 v23, v29
	v_mov_b32_e32 v17, v9
	v_pk_add_f32 v[0:1], v[22:23], v[0:1]
	v_mov_b32_e32 v9, v25
	v_mov_b32_e32 v31, v89
	v_pk_add_f32 v[0:1], v[8:9], v[0:1]
	v_mov_b32_e32 v109, v111
	v_pk_add_f32 v[8:9], v[2:3], v[30:31]
	;; [unrolled: 2-line block ×6, first 2 shown]
	v_mov_b32_e32 v85, v87
	v_mov_b32_e32 v5, v7
	ds_write2_b64 v118, v[0:1], v[8:9] offset0:6 offset1:7
	v_pk_add_f32 v[0:1], v[2:3], v[34:35]
	v_mov_b32_e32 v91, v93
	v_pk_add_f32 v[8:9], v[2:3], v[84:85]
	v_pk_add_f32 v[2:3], v[2:3], v[4:5]
	v_mov_b32_e32 v43, v45
	v_mov_b32_e32 v18, v32
	v_pk_add_f32 v[8:9], v[90:91], v[8:9]
	v_mov_b32_e32 v95, v97
	v_pk_add_f32 v[2:3], v[42:43], v[2:3]
	v_mov_b32_e32 v47, v49
	v_pk_add_f32 v[0:1], v[18:19], v[0:1]
	v_mov_b32_e32 v32, v36
	v_pk_add_f32 v[8:9], v[94:95], v[8:9]
	v_mov_b32_e32 v99, v101
	v_pk_add_f32 v[2:3], v[46:47], v[2:3]
	v_mov_b32_e32 v51, v53
	v_mov_b32_e32 v16, v24
	v_pk_add_f32 v[0:1], v[32:33], v[0:1]
	v_mov_b32_e32 v36, v38
	v_pk_add_f32 v[8:9], v[98:99], v[8:9]
	;; [unrolled: 2-line block ×4, first 2 shown]
	v_pk_add_f32 v[0:1], v[36:37], v[0:1]
	v_mov_b32_e32 v38, v40
	v_pk_add_f32 v[8:9], v[102:103], v[8:9]
	v_pk_add_f32 v[2:3], v[54:55], v[2:3]
	ds_write2_b64 v118, v[106:107], v[16:17] offset0:4 offset1:5
	v_pk_add_f32 v[0:1], v[38:39], v[0:1]
	ds_write2_b64 v118, v[8:9], v[2:3] offset0:8 offset1:9
	ds_write_b64 v118, v[0:1] offset:80
	s_waitcnt lgkmcnt(0)
	; wave barrier
	s_waitcnt lgkmcnt(0)
	ds_read2_b64 v[12:15], v116 offset0:176 offset1:208
	ds_read2_b64 v[4:7], v116 offset0:32 offset1:64
	;; [unrolled: 1-line block ×4, first 2 shown]
	ds_read_b64 v[20:21], v117
	ds_read_b64 v[22:23], v116 offset:2432
	s_load_dwordx2 s[12:13], s[0:1], 0x38
	v_or_b32_e32 v24, 0xa0, v79
	v_mov_b32_e32 v25, v81
	s_mov_b64 s[0:1], 0xb0
	v_cmp_gt_u64_e32 vcc, s[0:1], v[24:25]
	s_and_saveexec_b64 s[0:1], vcc
	s_cbranch_execz .LBB0_3
; %bb.2:
	ds_read2_b64 v[0:3], v26 offset0:32 offset1:208
.LBB0_3:
	s_or_b64 exec, exec, s[0:1]
	v_or_b32_e32 v28, 32, v79
	v_mul_lo_u16_e32 v29, 47, v28
	v_lshrrev_b16_e32 v49, 9, v29
	v_mul_lo_u16_e32 v29, 11, v49
	v_sub_u16_e32 v50, v28, v29
	v_or_b32_e32 v29, 64, v79
	v_mul_lo_u16_e32 v30, 0xbb, v29
	v_lshrrev_b16_e32 v51, 11, v30
	v_mul_lo_u16_e32 v30, 11, v51
	v_mul_lo_u16_e32 v25, 24, v79
	v_sub_u16_e32 v52, v29, v30
	v_or_b32_e32 v30, 0x60, v79
	v_lshrrev_b16_e32 v27, 8, v25
	v_mul_lo_u16_e32 v31, 0xbb, v30
	v_mul_lo_u16_e32 v25, 11, v27
	v_lshrrev_b16_e32 v53, 11, v31
	v_sub_u16_e32 v48, v79, v25
	v_mov_b32_e32 v25, 3
	v_mul_lo_u16_e32 v31, 11, v53
	v_lshlrev_b32_sdwa v26, v25, v48 dst_sel:DWORD dst_unused:UNUSED_PAD src0_sel:DWORD src1_sel:BYTE_0
	v_sub_u16_e32 v54, v30, v31
	v_lshlrev_b32_sdwa v28, v25, v50 dst_sel:DWORD dst_unused:UNUSED_PAD src0_sel:DWORD src1_sel:BYTE_0
	v_lshlrev_b32_sdwa v29, v25, v52 dst_sel:DWORD dst_unused:UNUSED_PAD src0_sel:DWORD src1_sel:BYTE_0
	;; [unrolled: 1-line block ×3, first 2 shown]
	global_load_dwordx2 v[86:87], v26, s[10:11]
	global_load_dwordx2 v[82:83], v28, s[10:11]
	;; [unrolled: 1-line block ×4, first 2 shown]
	v_or_b32_e32 v26, 0x80, v79
	v_mul_lo_u16_e32 v28, 0x75, v26
	v_sub_u16_sdwa v29, v26, v28 dst_sel:DWORD dst_unused:UNUSED_PAD src0_sel:DWORD src1_sel:BYTE_1
	v_lshrrev_b16_e32 v29, 1, v29
	v_and_b32_e32 v29, 0x7f, v29
	v_add_u16_sdwa v28, v29, v28 dst_sel:DWORD dst_unused:UNUSED_PAD src0_sel:DWORD src1_sel:BYTE_1
	v_lshrrev_b16_e32 v28, 3, v28
	v_and_b32_e32 v55, 31, v28
	v_mul_lo_u16_e32 v28, 11, v55
	v_sub_u16_e32 v94, v26, v28
	v_mul_lo_u16_e32 v28, 0x75, v24
	v_sub_u16_sdwa v29, v24, v28 dst_sel:DWORD dst_unused:UNUSED_PAD src0_sel:DWORD src1_sel:BYTE_1
	v_lshrrev_b16_e32 v29, 1, v29
	v_and_b32_e32 v29, 0x7f, v29
	v_add_u16_sdwa v28, v29, v28 dst_sel:DWORD dst_unused:UNUSED_PAD src0_sel:DWORD src1_sel:BYTE_1
	v_lshrrev_b16_e32 v95, 3, v28
	v_mul_lo_u16_e32 v28, 11, v95
	v_sub_u16_e32 v120, v24, v28
	v_lshlrev_b32_sdwa v26, v25, v94 dst_sel:DWORD dst_unused:UNUSED_PAD src0_sel:DWORD src1_sel:BYTE_0
	v_lshlrev_b32_sdwa v24, v25, v120 dst_sel:DWORD dst_unused:UNUSED_PAD src0_sel:DWORD src1_sel:BYTE_0
	global_load_dwordx2 v[92:93], v26, s[10:11]
	global_load_dwordx2 v[84:85], v24, s[10:11]
	s_waitcnt lgkmcnt(0)
	v_mov_b32_e32 v24, v15
	v_mov_b32_e32 v38, v10
	;; [unrolled: 1-line block ×8, first 2 shown]
	s_waitcnt lgkmcnt(0)
	; wave barrier
	v_mov_b32_e32 v26, v23
	v_mul_u32_u24_e32 v125, 22, v95
	s_waitcnt vmcnt(5)
	v_mul_f32_e32 v34, v12, v87
	s_waitcnt vmcnt(4)
	v_pk_mul_f32 v[28:29], v[14:15], v[82:83]
	v_mov_b32_e32 v32, v83
	s_waitcnt vmcnt(3)
	v_pk_mul_f32 v[36:37], v[16:17], v[90:91] op_sel:[0,1]
	s_waitcnt vmcnt(2)
	v_pk_mul_f32 v[40:41], v[18:19], v[88:89] op_sel:[0,1]
	v_mul_f32_e32 v25, v13, v87
	v_fmac_f32_e32 v34, v13, v86
	v_mov_b32_e32 v13, v28
	v_pk_mul_f32 v[28:29], v[14:15], v[32:33]
	v_pk_fma_f32 v[32:33], v[16:17], v[90:91], v[36:37] op_sel:[0,0,1] op_sel_hi:[1,1,0] neg_lo:[0,0,1] neg_hi:[0,0,1]
	v_pk_fma_f32 v[16:17], v[16:17], v[90:91], v[36:37] op_sel:[0,0,1] op_sel_hi:[1,0,0]
	v_pk_fma_f32 v[36:37], v[18:19], v[88:89], v[40:41] op_sel:[0,0,1] op_sel_hi:[1,1,0] neg_lo:[0,0,1] neg_hi:[0,0,1]
	v_pk_fma_f32 v[18:19], v[18:19], v[88:89], v[40:41] op_sel:[0,0,1] op_sel_hi:[1,0,0]
	v_fma_f32 v12, v12, v86, -v25
	v_mov_b32_e32 v37, v19
	v_pk_fma_f32 v[24:25], v[24:25], v[82:83], v[28:29]
	v_pk_add_f32 v[28:29], v[8:9], v[36:37] neg_lo:[0,1] neg_hi:[0,1]
	v_pk_fma_f32 v[14:15], v[14:15], v[82:83], v[12:13] neg_lo:[1,0,0] neg_hi:[1,0,0]
	v_pk_fma_f32 v[42:43], v[8:9], 2.0, v[28:29] op_sel_hi:[1,0,1] neg_lo:[0,0,1] neg_hi:[0,0,1]
	v_mov_b32_e32 v33, v17
	v_mov_b32_e32 v13, v24
	v_pk_add_f32 v[40:41], v[6:7], v[32:33] neg_lo:[0,1] neg_hi:[0,1]
	v_pk_add_f32 v[32:33], v[0:1], v[12:13] neg_lo:[0,1] neg_hi:[0,1]
	v_mov_b32_e32 v0, v21
	v_mov_b32_e32 v1, v4
	s_waitcnt vmcnt(0)
	v_pk_mul_f32 v[8:9], v[2:3], v[84:85]
	v_mov_b32_e32 v14, v85
	v_mov_b32_e32 v9, v8
	v_pk_mul_f32 v[18:19], v[2:3], v[14:15]
	v_pk_fma_f32 v[2:3], v[2:3], v[84:85], v[8:9] neg_lo:[1,0,0] neg_hi:[1,0,0]
	v_mov_b32_e32 v35, v15
	v_pk_add_f32 v[100:101], v[0:1], v[34:35] neg_lo:[0,1] neg_hi:[0,1]
	v_mad_legacy_u16 v2, v27, 22, v48
	v_mov_b32_e32 v0, v32
	v_mov_b32_e32 v1, v100
	v_and_b32_e32 v2, 0xff, v2
	v_pk_fma_f32 v[96:97], v[20:21], 2.0, v[0:1] op_sel_hi:[1,0,1] neg_lo:[0,0,1] neg_hi:[0,0,1]
	v_add_lshl_u32 v121, v119, v2, 3
	ds_write2_b64 v121, v[96:97], v[0:1] offset1:11
	v_mad_legacy_u16 v0, v49, 22, v50
	v_and_b32_e32 v0, 0xff, v0
	v_pk_fma_f32 v[46:47], v[6:7], 2.0, v[40:41] op_sel_hi:[1,0,1] neg_lo:[0,0,1] neg_hi:[0,0,1]
	v_pk_mul_f32 v[6:7], v[22:23], v[92:93]
	v_add_lshl_u32 v122, v119, v0, 3
	v_mul_u32_u24_e32 v0, 22, v51
	v_mov_b32_e32 v6, v93
	v_add_u32_sdwa v0, v0, v52 dst_sel:DWORD dst_unused:UNUSED_PAD src0_sel:DWORD src1_sel:BYTE_0
	v_mov_b32_e32 v16, v7
	v_pk_mul_f32 v[6:7], v[22:23], v[6:7]
	v_add_lshl_u32 v123, v119, v0, 3
	v_mul_u32_u24_e32 v0, 22, v53
	v_pk_fma_f32 v[16:17], v[22:23], v[92:93], v[16:17] neg_lo:[0,0,1] neg_hi:[0,0,1]
	v_pk_fma_f32 v[6:7], v[26:27], v[92:93], v[6:7]
	v_pk_fma_f32 v[8:9], v[30:31], v[84:85], v[18:19]
	v_add_u32_sdwa v0, v0, v54 dst_sel:DWORD dst_unused:UNUSED_PAD src0_sel:DWORD src1_sel:BYTE_0
	v_mov_b32_e32 v7, v3
	v_mov_b32_e32 v17, v8
	v_add_lshl_u32 v124, v119, v0, 3
	v_mov_b32_e32 v0, 22
	v_pk_add_f32 v[44:45], v[10:11], v[6:7] neg_lo:[0,1] neg_hi:[0,1]
	v_pk_add_f32 v[36:37], v[38:39], v[16:17] neg_lo:[0,1] neg_hi:[0,1]
	v_mul_u32_u24_sdwa v0, v55, v0 dst_sel:DWORD dst_unused:UNUSED_PAD src0_sel:WORD_0 src1_sel:DWORD
	v_mov_b32_e32 v12, v101
	v_mov_b32_e32 v13, v33
	v_pk_fma_f32 v[98:99], v[10:11], 2.0, v[44:45] op_sel_hi:[1,0,1] neg_lo:[0,0,1] neg_hi:[0,0,1]
	v_pk_fma_f32 v[30:31], v[38:39], 2.0, v[36:37] op_sel_hi:[1,0,1] neg_lo:[0,0,1] neg_hi:[0,0,1]
	v_add_u32_sdwa v0, v0, v94 dst_sel:DWORD dst_unused:UNUSED_PAD src0_sel:DWORD src1_sel:BYTE_0
	v_pk_fma_f32 v[34:35], v[4:5], 2.0, v[12:13] op_sel_hi:[1,0,1] neg_lo:[0,0,1] neg_hi:[0,0,1]
	v_add_lshl_u32 v126, v119, v0, 3
	v_mov_b32_e32 v0, v30
	v_mov_b32_e32 v1, v98
	;; [unrolled: 1-line block ×4, first 2 shown]
	ds_write2_b64 v122, v[34:35], v[12:13] offset1:11
	ds_write2_b64 v123, v[46:47], v[40:41] offset1:11
	;; [unrolled: 1-line block ×4, first 2 shown]
	s_and_saveexec_b64 s[0:1], vcc
	s_cbranch_execz .LBB0_5
; %bb.4:
	v_add_u32_sdwa v0, v125, v120 dst_sel:DWORD dst_unused:UNUSED_PAD src0_sel:DWORD src1_sel:BYTE_0
	v_add_lshl_u32 v4, v119, v0, 3
	v_mov_b32_e32 v0, v99
	v_mov_b32_e32 v1, v31
	;; [unrolled: 1-line block ×4, first 2 shown]
	ds_write2_b64 v4, v[0:1], v[2:3] offset1:11
.LBB0_5:
	s_or_b64 exec, exec, s[0:1]
	v_cmp_gt_u32_e64 s[0:1], 22, v79
	v_cmp_lt_u32_e64 s[2:3], 21, v79
	s_waitcnt lgkmcnt(0)
	; wave barrier
	s_waitcnt lgkmcnt(0)
	s_and_saveexec_b64 s[14:15], s[2:3]
	s_xor_b64 s[14:15], exec, s[14:15]
	s_or_saveexec_b64 s[14:15], s[14:15]
                                        ; implicit-def: $vgpr102
                                        ; implicit-def: $vgpr54
                                        ; implicit-def: $vgpr50
	s_xor_b64 exec, exec, s[14:15]
	s_cbranch_execz .LBB0_7
; %bb.6:
	v_add_u32_e32 v0, 0x400, v116
	ds_read2_b64 v[32:35], v116 offset0:22 offset1:44
	ds_read2_b64 v[44:47], v116 offset0:66 offset1:88
	;; [unrolled: 1-line block ×6, first 2 shown]
	v_add_u32_e32 v0, 0x800, v116
	ds_read2_b64 v[52:55], v0 offset0:30 offset1:52
	ds_read_b64 v[96:97], v117
	ds_read_b64 v[102:103], v116 offset:2640
	s_waitcnt lgkmcnt(5)
	v_mov_b32_e32 v98, v31
	s_waitcnt lgkmcnt(4)
	v_mov_b32_e32 v99, v38
	v_mov_b32_e32 v31, v39
	;; [unrolled: 1-line block ×6, first 2 shown]
	s_waitcnt lgkmcnt(3)
	v_mov_b32_e32 v45, v48
	v_mov_b32_e32 v37, v49
.LBB0_7:
	s_or_b64 exec, exec, s[14:15]
	v_subrev_u32_e32 v0, 22, v79
	v_cndmask_b32_e64 v0, v0, v79, s[0:1]
	v_mul_hi_i32_i24_e32 v1, 0x78, v0
	v_mul_i32_i24_e32 v0, 0x78, v0
	v_lshl_add_u64 v[38:39], s[10:11], 0, v[0:1]
	global_load_dwordx4 v[0:3], v[38:39], off offset:88
	global_load_dwordx4 v[8:11], v[38:39], off offset:104
	;; [unrolled: 1-line block ×7, first 2 shown]
	global_load_dwordx2 v[94:95], v[38:39], off offset:200
	v_mov_b32_e32 v110, v37
	v_lshl_add_u64 v[38:39], s[8:9], 0, v[80:81]
	v_mov_b32_e32 v104, v47
	v_mov_b32_e32 v106, v41
	s_waitcnt lgkmcnt(2)
	v_mov_b32_e32 v112, v53
	v_mov_b32_e32 v48, v33
	s_waitcnt lgkmcnt(1)
	v_add_f32_e32 v49, v96, v96
	v_mov_b32_e32 v108, v29
	s_waitcnt lgkmcnt(0)
	v_mov_b32_e32 v114, v103
	s_mov_b32 s10, 0x3f3504f3
	s_mov_b32 s14, 0x3ec3ef15
	;; [unrolled: 1-line block ×6, first 2 shown]
	s_waitcnt vmcnt(7)
	v_pk_mul_f32 v[130:131], v[34:35], v[2:3]
	s_waitcnt vmcnt(6)
	v_pk_mul_f32 v[132:133], v[100:101], v[8:9]
	v_pk_mul_f32 v[134:135], v[46:47], v[10:11]
	s_waitcnt vmcnt(4)
	v_pk_mul_f32 v[140:141], v[28:29], v[12:13]
	v_mov_b32_e32 v130, v11
	s_waitcnt vmcnt(2)
	v_pk_mul_f32 v[110:111], v[110:111], v[24:25]
	v_pk_mul_f32 v[142:143], v[50:51], v[26:27]
	s_waitcnt vmcnt(1)
	v_pk_mul_f32 v[144:145], v[52:53], v[20:21]
	v_pk_mul_f32 v[136:137], v[40:41], v[4:5]
	v_mov_b32_e32 v132, v5
	v_pk_mul_f32 v[138:139], v[42:43], v[6:7]
	v_mul_f32_e32 v127, v43, v6
	v_mov_b32_e32 v140, v21
	v_pk_mul_f32 v[146:147], v[54:55], v[22:23]
	s_waitcnt vmcnt(0)
	v_pk_mul_f32 v[148:149], v[102:103], v[94:95]
	v_mov_b32_e32 v144, v135
	v_mov_b32_e32 v43, v110
	;; [unrolled: 1-line block ×3, first 2 shown]
	v_mul_f32_e32 v81, v35, v2
	v_pk_mul_f32 v[150:151], v[46:47], v[130:131]
	v_mov_b32_e32 v130, v133
	v_sub_f32_e32 v139, v138, v139
	v_sub_f32_e32 v147, v146, v147
	v_mov_b32_e32 v138, v131
	v_mov_b32_e32 v146, v137
	v_pk_mul_f32 v[132:133], v[40:41], v[132:133]
	v_fmac_f32_e32 v127, v42, v7
	v_mov_b32_e32 v42, v141
	v_mov_b32_e32 v148, v145
	v_pk_mul_f32 v[140:141], v[52:53], v[140:141]
	v_pk_fma_f32 v[46:47], v[46:47], v[10:11], v[144:145] neg_lo:[0,0,1] neg_hi:[0,0,1]
	v_pk_fma_f32 v[110:111], v[50:51], v[26:27], v[110:111] neg_lo:[0,0,1] neg_hi:[0,0,1]
	v_mul_f32_e32 v153, v31, v18
	v_fmac_f32_e32 v81, v34, v3
	v_pk_fma_f32 v[34:35], v[34:35], v[2:3], v[138:139] neg_lo:[0,0,1] neg_hi:[0,0,1]
	v_pk_fma_f32 v[40:41], v[40:41], v[4:5], v[146:147] neg_lo:[0,0,1] neg_hi:[0,0,1]
	v_pk_fma_f32 v[106:107], v[106:107], v[4:5], v[132:133]
	v_pk_fma_f32 v[52:53], v[52:53], v[20:21], v[148:149] neg_lo:[0,0,1] neg_hi:[0,0,1]
	v_pk_fma_f32 v[112:113], v[112:113], v[20:21], v[140:141] op_sel_hi:[0,1,1]
	v_pk_add_f32 v[110:111], v[46:47], v[110:111] neg_lo:[0,1] neg_hi:[0,1]
	v_mov_b32_e32 v128, v1
	v_mov_b32_e32 v134, v13
	;; [unrolled: 1-line block ×3, first 2 shown]
	v_mul_f32_e32 v154, v55, v22
	v_mov_b32_e32 v152, v149
	v_fmac_f32_e32 v153, v99, v19
	v_fma_f32 v35, v46, 2.0, -v110
	v_pk_add_f32 v[46:47], v[40:41], v[52:53] neg_lo:[0,1] neg_hi:[0,1]
	v_pk_add_f32 v[52:53], v[106:107], v[112:113] neg_lo:[0,1] neg_hi:[0,1]
	v_pk_mul_f32 v[128:129], v[100:101], v[128:129]
	v_pk_mul_f32 v[134:135], v[28:29], v[134:135]
	;; [unrolled: 1-line block ×3, first 2 shown]
	v_fmac_f32_e32 v154, v54, v23
	v_pk_fma_f32 v[54:55], v[48:49], v[8:9], v[130:131]
	v_pk_fma_f32 v[28:29], v[28:29], v[12:13], v[42:43] neg_lo:[0,0,1] neg_hi:[0,0,1]
	v_pk_fma_f32 v[102:103], v[102:103], v[94:95], v[152:153] neg_lo:[0,0,1] neg_hi:[0,0,1]
	v_fma_f32 v53, v106, 2.0, -v52
	v_mov_b32_e32 v106, v1
	v_mov_b32_e32 v107, v9
	v_pk_fma_f32 v[128:129], v[32:33], v[0:1], v[128:129] neg_lo:[0,0,1] neg_hi:[0,0,1]
	v_fma_f32 v55, v40, 2.0, -v46
	v_pk_add_f32 v[40:41], v[28:29], v[102:103] neg_lo:[0,1] neg_hi:[0,1]
	v_mov_b32_e32 v102, v0
	v_mov_b32_e32 v103, v8
	v_pk_mul_f32 v[32:33], v[32:33], v[106:107]
	v_mov_b32_e32 v136, v17
	v_pk_fma_f32 v[106:107], v[100:101], v[102:103], v[32:33]
	v_pk_fma_f32 v[32:33], v[100:101], v[102:103], v[32:33] neg_lo:[0,0,1] neg_hi:[0,0,1]
	v_mov_b32_e32 v102, v15
	v_mov_b32_e32 v103, v19
	;; [unrolled: 1-line block ×4, first 2 shown]
	v_pk_mul_f32 v[102:103], v[30:31], v[102:103]
	v_pk_mul_f32 v[136:137], v[44:45], v[136:137]
	v_pk_fma_f32 v[112:113], v[98:99], v[14:15], v[102:103]
	v_pk_fma_f32 v[100:101], v[98:99], v[100:101], v[102:103] neg_lo:[0,0,1] neg_hi:[0,0,1]
	v_mov_b32_e32 v102, v17
	v_mov_b32_e32 v103, v25
	v_pk_fma_f32 v[130:131], v[36:37], v[16:17], v[136:137] neg_lo:[0,0,1] neg_hi:[0,0,1]
	v_mov_b32_e32 v113, v101
	v_mov_b32_e32 v100, v16
	v_mov_b32_e32 v101, v24
	v_pk_mul_f32 v[36:37], v[36:37], v[102:103]
	v_pk_fma_f32 v[42:43], v[44:45], v[24:25], v[42:43]
	v_pk_fma_f32 v[102:103], v[44:45], v[16:17], v[36:37]
	v_pk_fma_f32 v[36:37], v[44:45], v[100:101], v[36:37] neg_lo:[0,0,1] neg_hi:[0,0,1]
	v_sub_f32_e32 v42, v81, v153
	v_sub_f32_e32 v48, v139, v147
	v_mov_b32_e32 v103, v37
	v_mov_b32_e32 v36, v97
	;; [unrolled: 1-line block ×3, first 2 shown]
	v_mov_b32_e32 v131, 2.0
	v_add_f32_e32 v111, v34, v34
	v_fma_f32 v29, v28, 2.0, -v40
	v_add_f32_e32 v28, v42, v48
	v_mov_b32_e32 v107, v33
	v_pk_add_f32 v[36:37], v[36:37], v[112:113] neg_lo:[0,1] neg_hi:[0,1]
	v_pk_add_f32 v[44:45], v[128:129], v[130:131] op_sel_hi:[0,1] neg_lo:[0,1] neg_hi:[0,1]
	v_pk_mul_f32 v[100:101], v[128:129], v[130:131] op_sel_hi:[0,1]
	v_fma_f32 v133, v139, 2.0, -v48
	v_mul_f32_e32 v132, 0x3f3504f3, v28
	v_mov_b32_e32 v45, v101
	v_pk_add_f32 v[100:101], v[106:107], v[102:103] neg_lo:[0,1] neg_hi:[0,1]
	v_add_f32_e32 v47, v33, v33
	v_pk_add_f32 v[32:33], v[110:111], v[36:37] neg_lo:[0,1] neg_hi:[0,1]
	v_fma_f32 v103, v106, 2.0, -v100
	v_pk_add_f32 v[112:113], v[110:111], v[36:37]
	v_pk_add_f32 v[106:107], v[32:33], v[132:133] neg_lo:[0,1] neg_hi:[0,1]
	v_pk_add_f32 v[128:129], v[112:113], v[132:133]
	v_mov_b32_e32 v106, v51
	v_mov_b32_e32 v51, v98
	;; [unrolled: 1-line block ×4, first 2 shown]
	v_pk_fma_f32 v[104:105], v[104:105], v[10:11], v[150:151]
	v_pk_fma_f32 v[114:115], v[114:115], v[94:95], v[142:143]
	v_fma_f32 v142, v97, 2.0, -v36
	v_mov_b32_e32 v129, v107
	v_fma_f32 v97, v33, 2.0, -v107
	v_mov_b32_e32 v107, v30
	v_mov_b32_e32 v30, v26
	;; [unrolled: 1-line block ×3, first 2 shown]
	v_pk_mul_f32 v[50:51], v[50:51], v[98:99]
	v_pk_fma_f32 v[108:109], v[108:109], v[12:13], v[134:135]
	v_sub_f32_e32 v105, v127, v154
	v_pk_fma_f32 v[98:99], v[106:107], v[26:27], v[50:51]
	v_pk_fma_f32 v[30:31], v[106:107], v[30:31], v[50:51] neg_lo:[0,0,1] neg_hi:[0,0,1]
	v_fma_f32 v109, v127, 2.0, -v105
	v_fma_f32 v135, v42, 2.0, -v28
	v_sub_f32_e32 v28, v37, v105
	v_mov_b32_e32 v99, v31
	v_mov_b32_e32 v105, v96
	v_pk_add_f32 v[50:51], v[104:105], v[98:99] neg_lo:[0,1] neg_hi:[0,1]
	v_fma_f32 v81, v81, 2.0, -v42
	v_mov_b32_e32 v48, v51
	v_sub_f32_e32 v127, v81, v109
	v_mul_f32_e32 v34, 0x3f3504f3, v28
	v_pk_add_f32 v[98:99], v[48:49], v[50:51] neg_lo:[0,1] neg_hi:[0,1]
	v_mov_b32_e32 v109, v54
	v_mov_b32_e32 v115, v43
	v_pk_add_f32 v[30:31], v[98:99], v[34:35] neg_lo:[0,1] neg_hi:[0,1]
	v_pk_add_f32 v[48:49], v[108:109], v[114:115] neg_lo:[0,1] neg_hi:[0,1]
	v_mov_b32_e32 v42, v101
	v_mov_b32_e32 v43, v40
	v_fma_f32 v130, v37, 2.0, -v28
	v_sub_f32_e32 v33, v103, v53
	v_mov_b32_e32 v53, v44
	v_fma_f32 v113, v104, 2.0, -v50
	v_fma_f32 v28, v54, 2.0, -v49
	;; [unrolled: 1-line block ×3, first 2 shown]
	v_pk_add_f32 v[104:105], v[42:43], v[48:49] neg_lo:[0,1] neg_hi:[0,1]
	v_pk_add_f32 v[52:53], v[44:45], v[52:53] neg_lo:[0,1] neg_hi:[0,1]
	v_sub_f32_e32 v30, v28, v30
	v_pk_add_f32 v[40:41], v[42:43], v[48:49]
	v_mul_f32_e32 v54, 0x3f3504f3, v104
	v_pk_add_f32 v[110:111], v[46:47], v[100:101]
	v_pk_add_f32 v[136:137], v[98:99], v[34:35]
	v_fma_f32 v35, v28, 2.0, -v30
	v_mov_b32_e32 v105, v41
	v_mul_f32_e32 v28, 0x3f3504f3, v41
	v_pk_add_f32 v[40:41], v[52:53], v[54:55] neg_lo:[0,1] neg_hi:[0,1]
	v_mov_b32_e32 v102, v53
	v_pk_add_f32 v[46:47], v[46:47], v[100:101] neg_lo:[0,1] neg_hi:[0,1]
	v_pk_add_f32 v[108:109], v[52:53], v[54:55]
	v_mov_b32_e32 v32, v41
	v_mov_b32_e32 v45, v100
	;; [unrolled: 1-line block ×4, first 2 shown]
	v_pk_fma_f32 v[40:41], v[102:103], 2.0, v[32:33] op_sel_hi:[1,0,1] neg_lo:[0,0,1] neg_hi:[0,0,1]
	v_pk_fma_f32 v[42:43], v[44:45], 2.0, v[52:53] op_sel_hi:[1,0,1] neg_lo:[0,0,1] neg_hi:[0,0,1]
	v_pk_add_f32 v[102:103], v[110:111], v[28:29]
	v_pk_add_f32 v[44:45], v[46:47], v[28:29] neg_lo:[0,1] neg_hi:[0,1]
	v_mov_b32_e32 v48, v101
	v_add_f32_e32 v131, v99, v99
	v_mov_b32_e32 v103, v45
	v_fma_f32 v53, v47, 2.0, -v45
	v_pk_fma_f32 v[46:47], v[48:49], 2.0, v[104:105] op_sel_hi:[1,0,1] neg_lo:[0,0,1] neg_hi:[0,0,1]
	v_mov_b32_e32 v44, v51
	v_mov_b32_e32 v45, v36
	v_mov_b32_e32 v99, v112
	v_pk_fma_f32 v[44:45], v[44:45], 2.0, v[98:99] op_sel_hi:[1,0,1] neg_lo:[0,0,1] neg_hi:[0,0,1]
	v_pk_mul_f32 v[36:37], v[46:47], s[10:11] op_sel_hi:[1,0]
	v_pk_fma_f32 v[46:47], v[46:47], s[10:11], v[42:43] op_sel_hi:[1,0,1] neg_lo:[1,0,0] neg_hi:[1,0,0]
	v_mov_b32_e32 v29, v30
	v_fmamk_f32 v50, v135, 0xbf3504f3, v45
	v_pk_add_f32 v[106:107], v[46:47], v[36:37] op_sel:[0,1] op_sel_hi:[1,0] neg_lo:[0,1] neg_hi:[0,1]
	v_pk_add_f32 v[36:37], v[46:47], v[36:37] op_sel:[0,1] op_sel_hi:[1,0]
	v_pk_add_f32 v[46:47], v[108:109], v[28:29] neg_lo:[0,1] neg_hi:[0,1]
	v_mov_b32_e32 v55, v33
	v_mov_b32_e32 v137, v31
	v_fmac_f32_e32 v50, 0x3f3504f3, v130
	v_sub_f32_e32 v105, v41, v35
	v_pk_add_f32 v[54:55], v[54:55], v[102:103]
	v_fma_f32 v28, v52, 2.0, -v46
	v_mul_f32_e32 v52, 0x3ec3ef15, v37
	v_mov_b32_e32 v51, v40
	v_sub_f32_e32 v35, v142, v113
	v_mov_b32_e32 v133, v127
	v_fma_f32 v29, v110, 2.0, -v54
	v_pk_add_f32 v[100:101], v[50:51], v[52:53]
	v_pk_add_f32 v[110:111], v[50:51], v[52:53] neg_lo:[0,1] neg_hi:[0,1]
	v_pk_add_f32 v[52:53], v[136:137], v[132:133] neg_lo:[0,1] neg_hi:[0,1]
	v_pk_add_f32 v[102:103], v[34:35], v[128:129]
	v_mul_f32_e32 v134, 0x3f3504f3, v135
	v_fmamk_f32 v130, v130, 0xbf3504f3, v44
	v_fma_f32 v34, v98, 2.0, -v52
	v_fma_f32 v51, v112, 2.0, -v102
	v_mov_b32_e32 v135, v31
	v_fma_f32 v81, v81, 2.0, -v127
	v_mul_f32_e32 v96, 0x3ec3ef15, v106
	v_pk_mul_f32 v[138:139], v[46:47], s[14:15]
	v_fma_f32 v113, v142, 2.0, -v35
	v_fmamk_f32 v30, v28, 0xbec3ef15, v34
	v_fmamk_f32 v36, v29, 0xbec3ef15, v51
	v_pk_add_f32 v[108:109], v[130:131], v[134:135] neg_lo:[0,1] neg_hi:[0,1]
	v_mov_b32_e32 v101, v111
	v_mul_f32_e32 v48, 0x3f6c835e, v106
	v_pk_mul_f32 v[140:141], v[54:55], s[16:17]
	v_mul_f32_e32 v138, 0x3f6c835e, v46
	v_sub_f32_e32 v49, v113, v81
	v_fmac_f32_e32 v30, 0xbf6c835e, v29
	v_fmac_f32_e32 v36, 0x3f6c835e, v28
	v_pk_add_f32 v[28:29], v[108:109], v[96:97]
	v_pk_add_f32 v[114:115], v[108:109], v[96:97] neg_lo:[0,1] neg_hi:[0,1]
	v_mul_f32_e32 v104, 0x3f6c835e, v37
	v_mov_b32_e32 v29, v115
	v_pk_add_f32 v[98:99], v[48:49], v[100:101]
	v_pk_add_f32 v[96:97], v[52:53], v[138:139]
	v_pk_fma_f32 v[100:101], v[54:55], s[16:17], v[102:103]
	v_mul_f32_e32 v140, 0x3ec3ef15, v54
	v_pk_add_f32 v[28:29], v[28:29], v[104:105] neg_lo:[0,1] neg_hi:[0,1]
	v_pk_add_f32 v[96:97], v[96:97], v[140:141] neg_lo:[0,1] neg_hi:[0,1]
	v_pk_fma_f32 v[100:101], v[46:47], s[14:15], v[100:101]
	s_and_saveexec_b64 s[16:17], s[0:1]
	s_cbranch_execz .LBB0_9
; %bb.8:
	v_mov_b32_e32 v112, v109
	v_mov_b32_e32 v48, v115
	;; [unrolled: 1-line block ×4, first 2 shown]
	v_pk_fma_f32 v[112:113], v[112:113], 2.0, v[48:49] op_sel_hi:[1,0,1] neg_lo:[0,0,1] neg_hi:[0,0,1]
	v_pk_fma_f32 v[40:41], v[40:41], 2.0, v[104:105] op_sel_hi:[1,0,1] neg_lo:[0,0,1] neg_hi:[0,0,1]
	v_mov_b32_e32 v109, v50
	v_pk_add_f32 v[40:41], v[112:113], v[40:41] neg_lo:[0,1] neg_hi:[0,1]
	v_pk_fma_f32 v[42:43], v[42:43], 2.0, v[106:107] op_sel_hi:[1,0,1] neg_lo:[0,0,1] neg_hi:[0,0,1]
	v_pk_fma_f32 v[44:45], v[44:45], 2.0, v[108:109] op_sel_hi:[1,0,1] neg_lo:[0,0,1] neg_hi:[0,0,1]
	v_fma_f32 v129, v51, 2.0, -v36
	v_pk_fma_f32 v[104:105], v[112:113], 2.0, v[40:41] op_sel_hi:[1,0,1] neg_lo:[0,0,1] neg_hi:[0,0,1]
	v_pk_fma_f32 v[50:51], v[42:43], s[18:19], v[44:45] op_sel_hi:[1,0,1]
	v_pk_mul_f32 v[42:43], v[42:43], s[14:15] op_sel_hi:[1,0]
	v_fma_f32 v128, v34, 2.0, -v30
	ds_write_b64 v117, v[104:105]
	v_pk_add_f32 v[104:105], v[50:51], v[42:43] op_sel:[0,1] op_sel_hi:[1,0] neg_lo:[0,1] neg_hi:[0,1]
	v_pk_add_f32 v[42:43], v[50:51], v[42:43] op_sel:[0,1] op_sel_hi:[1,0]
	v_mov_b32_e32 v54, v47
	v_mov_b32_e32 v34, v31
	;; [unrolled: 1-line block ×5, first 2 shown]
	v_pk_fma_f32 v[32:33], v[32:33], 2.0, v[54:55] op_sel_hi:[1,0,1] neg_lo:[0,0,1] neg_hi:[0,0,1]
	v_pk_fma_f32 v[34:35], v[34:35], 2.0, v[46:47] op_sel_hi:[1,0,1] neg_lo:[0,0,1] neg_hi:[0,0,1]
	v_pk_fma_f32 v[42:43], v[44:45], 2.0, v[104:105] op_sel_hi:[1,0,1] neg_lo:[0,0,1] neg_hi:[0,0,1]
	v_pk_mul_f32 v[44:45], v[32:33], s[10:11] op_sel_hi:[1,0]
	v_pk_fma_f32 v[32:33], v[32:33], s[10:11], v[34:35] op_sel_hi:[1,0,1] neg_lo:[1,0,0] neg_hi:[1,0,0]
	v_mov_b32_e32 v53, v102
	v_pk_add_f32 v[50:51], v[32:33], v[44:45] op_sel:[0,1] op_sel_hi:[1,0] neg_lo:[0,1] neg_hi:[0,1]
	v_pk_add_f32 v[32:33], v[32:33], v[44:45] op_sel:[0,1] op_sel_hi:[1,0]
	v_mov_b32_e32 v44, v97
	v_mov_b32_e32 v51, v33
	v_pk_fma_f32 v[32:33], v[34:35], 2.0, v[50:51] op_sel_hi:[1,0,1] neg_lo:[0,0,1] neg_hi:[0,0,1]
	ds_write2_b64 v116, v[42:43], v[32:33] offset0:22 offset1:44
	v_mov_b32_e32 v32, v29
	v_mov_b32_e32 v33, v99
	v_pk_fma_f32 v[34:35], v[48:49], 2.0, v[32:33] op_sel_hi:[1,0,1] neg_lo:[0,0,1] neg_hi:[0,0,1]
	ds_write2_b64 v116, v[128:129], v[34:35] offset0:66 offset1:88
	v_mov_b32_e32 v34, v28
	v_mov_b32_e32 v35, v98
	;; [unrolled: 1-line block ×3, first 2 shown]
	v_pk_fma_f32 v[42:43], v[108:109], 2.0, v[34:35] op_sel_hi:[1,0,1] neg_lo:[0,0,1] neg_hi:[0,0,1]
	v_pk_fma_f32 v[46:47], v[46:47], 2.0, v[44:45] op_sel_hi:[1,0,1] neg_lo:[0,0,1] neg_hi:[0,0,1]
	ds_write2_b64 v116, v[42:43], v[46:47] offset0:110 offset1:132
	v_mov_b32_e32 v42, v96
	v_mov_b32_e32 v43, v100
	v_pk_fma_f32 v[46:47], v[52:53], 2.0, v[42:43] op_sel_hi:[1,0,1] neg_lo:[0,0,1] neg_hi:[0,0,1]
	v_mov_b32_e32 v31, v36
	v_add_u32_e32 v37, 0x400, v116
	ds_write2_b64 v116, v[46:47], v[40:41] offset0:154 offset1:176
	ds_write2_b64 v116, v[104:105], v[50:51] offset0:198 offset1:220
	;; [unrolled: 1-line block ×3, first 2 shown]
	v_add_u32_e32 v31, 0x800, v116
	ds_write2_b64 v31, v[34:35], v[44:45] offset0:30 offset1:52
	ds_write_b64 v116, v[42:43] offset:2640
.LBB0_9:
	s_or_b64 exec, exec, s[16:17]
	s_waitcnt lgkmcnt(0)
	; wave barrier
	s_waitcnt lgkmcnt(0)
	global_load_dwordx2 v[32:33], v[38:39], off offset:2816
	s_add_u32 s8, s8, 0xb00
	s_addc_u32 s9, s9, 0
	global_load_dwordx2 v[52:53], v80, s[8:9] offset:256
	global_load_dwordx2 v[54:55], v80, s[8:9] offset:512
	;; [unrolled: 1-line block ×10, first 2 shown]
	ds_read_b64 v[34:35], v117
	v_lshlrev_b32_e32 v105, 3, v119
	v_add_u32_e32 v31, 0x800, v116
	v_add_u32_e32 v104, v105, v80
	v_mov_b32_e32 v38, v90
	v_mov_b32_e32 v39, v90
	s_mov_b32 s26, 0xbf0a6770
	s_mov_b32 s18, 0xbf68dda4
	;; [unrolled: 1-line block ×16, first 2 shown]
	s_waitcnt vmcnt(10) lgkmcnt(0)
	v_mul_f32_e32 v37, v35, v33
	v_mul_f32_e32 v41, v34, v33
	v_fma_f32 v40, v34, v32, -v37
	v_fmac_f32_e32 v41, v35, v32
	ds_write_b64 v117, v[40:41]
	ds_read2_b64 v[32:35], v116 offset0:32 offset1:64
	ds_read2_b64 v[40:43], v116 offset0:96 offset1:128
	;; [unrolled: 1-line block ×3, first 2 shown]
	ds_read2_b64 v[48:51], v31 offset1:32
	ds_read_b64 v[80:81], v104 offset:1280
	ds_read_b64 v[132:133], v116 offset:2560
	s_waitcnt vmcnt(9) lgkmcnt(5)
	v_mul_f32_e32 v37, v33, v53
	v_mul_f32_e32 v135, v32, v53
	s_waitcnt vmcnt(8)
	v_mul_f32_e32 v90, v35, v55
	v_mul_f32_e32 v53, v34, v55
	s_waitcnt vmcnt(7) lgkmcnt(4)
	v_mul_f32_e32 v119, v41, v103
	v_mul_f32_e32 v55, v40, v103
	s_waitcnt vmcnt(6)
	v_mul_f32_e32 v127, v43, v107
	v_mul_f32_e32 v103, v42, v107
	;; [unrolled: 6-line block ×3, first 2 shown]
	s_waitcnt vmcnt(3)
	v_mul_f32_e32 v138, v47, v113
	v_mul_f32_e32 v111, v46, v113
	s_waitcnt vmcnt(2)
	v_mul_f32_e32 v139, v49, v115
	v_mul_f32_e32 v113, v48, v115
	;; [unrolled: 3-line block ×3, first 2 shown]
	s_waitcnt vmcnt(0) lgkmcnt(0)
	v_mul_f32_e32 v141, v133, v131
	v_mul_f32_e32 v129, v132, v131
	v_fma_f32 v134, v32, v52, -v37
	v_fmac_f32_e32 v135, v33, v52
	v_fma_f32 v52, v34, v54, -v90
	v_fmac_f32_e32 v53, v35, v54
	;; [unrolled: 2-line block ×10, first 2 shown]
	ds_write2_b64 v116, v[134:135], v[52:53] offset0:32 offset1:64
	ds_write2_b64 v116, v[54:55], v[102:103] offset0:96 offset1:128
	ds_write_b64 v104, v[106:107] offset:1280
	ds_write2_b64 v116, v[108:109], v[110:111] offset0:192 offset1:224
	ds_write2_b64 v31, v[112:113], v[114:115] offset1:32
	ds_write_b64 v116, v[128:129] offset:2560
	s_waitcnt lgkmcnt(0)
	; wave barrier
	s_waitcnt lgkmcnt(0)
	ds_read_b64 v[32:33], v117
	ds_read2_b64 v[40:43], v116 offset0:32 offset1:64
	ds_read2_b64 v[48:51], v116 offset0:96 offset1:128
	;; [unrolled: 1-line block ×3, first 2 shown]
	ds_read_b64 v[80:81], v104 offset:1280
	ds_read_b64 v[44:45], v116 offset:2560
	ds_read2_b64 v[52:55], v31 offset1:32
	s_waitcnt lgkmcnt(5)
	v_pk_add_f32 v[34:35], v[32:33], v[40:41]
	s_waitcnt lgkmcnt(3)
	v_pk_add_f32 v[138:139], v[108:109], v[50:51]
	v_pk_add_f32 v[34:35], v[34:35], v[42:43]
	s_waitcnt lgkmcnt(1)
	v_pk_add_f32 v[102:103], v[44:45], v[40:41]
	v_pk_add_f32 v[46:47], v[34:35], v[48:49]
	v_pk_add_f32 v[110:111], v[40:41], v[44:45] neg_lo:[0,1] neg_hi:[0,1]
	v_pk_add_f32 v[46:47], v[46:47], v[50:51]
	v_pk_mul_f32 v[40:41], v[110:111], s[18:19] op_sel_hi:[1,0]
	v_pk_add_f32 v[46:47], v[46:47], v[80:81]
	s_waitcnt lgkmcnt(0)
	v_pk_add_f32 v[128:129], v[54:55], v[42:43]
	v_pk_add_f32 v[46:47], v[46:47], v[106:107]
	v_pk_add_f32 v[130:131], v[42:43], v[54:55] neg_lo:[0,1] neg_hi:[0,1]
	v_mov_b32_e32 v144, v102
	v_mov_b32_e32 v145, v110
	v_pk_fma_f32 v[34:35], v[102:103], s[8:9], v[40:41] op_sel:[0,0,1] op_sel_hi:[1,0,0]
	v_pk_add_f32 v[46:47], v[46:47], v[108:109]
	v_pk_fma_f32 v[40:41], v[102:103], s[8:9], v[40:41] op_sel:[0,0,1] op_sel_hi:[1,0,0] neg_lo:[0,0,1] neg_hi:[0,0,1]
	v_pk_add_f32 v[142:143], v[106:107], v[80:81]
	v_pk_add_f32 v[80:81], v[80:81], v[106:107] neg_lo:[0,1] neg_hi:[0,1]
	v_mov_b32_e32 v106, v111
	v_mov_b32_e32 v107, v103
	v_pk_mul_f32 v[144:145], v[144:145], s[22:23]
	v_mov_b32_e32 v152, v128
	v_mov_b32_e32 v153, v130
	s_mov_b32 s9, s18
	v_pk_add_f32 v[46:47], v[46:47], v[52:53]
	v_pk_fma_f32 v[146:147], v[106:107], s[26:27], v[144:145] neg_lo:[1,0,0] neg_hi:[1,0,0]
	v_pk_fma_f32 v[148:149], v[106:107], s[26:27], v[144:145]
	v_mov_b32_e32 v150, v131
	v_mov_b32_e32 v151, v129
	s_mov_b32 s19, s8
	v_pk_mul_f32 v[152:153], v[152:153], s[8:9]
	v_pk_add_f32 v[46:47], v[46:47], v[54:55]
	v_pk_mul_f32 v[42:43], v[130:131], s[14:15] op_sel_hi:[1,0]
	v_pk_add_f32 v[108:109], v[50:51], v[108:109] neg_lo:[0,1] neg_hi:[0,1]
	v_mov_b32_e32 v147, v149
	v_pk_fma_f32 v[154:155], v[150:151], s[18:19], v[152:153] neg_lo:[1,0,0] neg_hi:[1,0,0]
	v_pk_fma_f32 v[156:157], v[150:151], s[18:19], v[152:153]
	v_pk_add_f32 v[112:113], v[46:47], v[44:45]
	v_mov_b32_e32 v114, v34
	v_mov_b32_e32 v115, v41
	v_pk_fma_f32 v[44:45], v[128:129], s[10:11], v[42:43] op_sel:[0,0,1] op_sel_hi:[1,0,0]
	v_pk_fma_f32 v[42:43], v[128:129], s[10:11], v[42:43] op_sel:[0,0,1] op_sel_hi:[1,0,0] neg_lo:[0,0,1] neg_hi:[0,0,1]
	v_pk_add_f32 v[132:133], v[52:53], v[48:49]
	v_pk_add_f32 v[134:135], v[48:49], v[52:53] neg_lo:[0,1] neg_hi:[0,1]
	v_pk_mul_f32 v[50:51], v[108:109], s[24:25] op_sel_hi:[1,0]
	v_pk_add_f32 v[146:147], v[32:33], v[146:147]
	v_mov_b32_e32 v155, v157
	s_mov_b32 s22, 0xbf7d64f0
	v_mov_b32_e32 v54, v44
	v_mov_b32_e32 v55, v43
	v_pk_fma_f32 v[52:53], v[138:139], s[16:17], v[50:51] op_sel:[0,0,1] op_sel_hi:[1,0,0]
	v_pk_fma_f32 v[50:51], v[138:139], s[16:17], v[50:51] op_sel:[0,0,1] op_sel_hi:[1,0,0] neg_lo:[0,0,1] neg_hi:[0,0,1]
	v_pk_add_f32 v[114:115], v[32:33], v[114:115]
	v_pk_add_f32 v[146:147], v[154:155], v[146:147]
	v_mov_b32_e32 v154, v132
	v_mov_b32_e32 v155, v134
	s_mov_b32 s17, s22
	v_pk_add_f32 v[54:55], v[54:55], v[114:115]
	v_mov_b32_e32 v114, v135
	v_mov_b32_e32 v115, v133
	s_mov_b32 s23, s16
	v_pk_mul_f32 v[154:155], v[154:155], s[16:17]
	v_pk_mul_f32 v[46:47], v[134:135], s[28:29] op_sel_hi:[1,0]
	v_pk_fma_f32 v[158:159], v[114:115], s[22:23], v[154:155] neg_lo:[1,0,0] neg_hi:[1,0,0]
	v_pk_fma_f32 v[160:161], v[114:115], s[22:23], v[154:155]
	v_pk_fma_f32 v[48:49], v[132:133], s[20:21], v[46:47] op_sel:[0,0,1] op_sel_hi:[1,0,0]
	v_pk_fma_f32 v[46:47], v[132:133], s[20:21], v[46:47] op_sel:[0,0,1] op_sel_hi:[1,0,0] neg_lo:[0,0,1] neg_hi:[0,0,1]
	v_mov_b32_e32 v159, v161
	v_mov_b32_e32 v136, v48
	;; [unrolled: 1-line block ×3, first 2 shown]
	v_pk_add_f32 v[146:147], v[158:159], v[146:147]
	v_mov_b32_e32 v158, v138
	v_mov_b32_e32 v159, v108
	s_mov_b32 s11, s14
	v_pk_add_f32 v[54:55], v[136:137], v[54:55]
	v_mov_b32_e32 v136, v109
	v_mov_b32_e32 v137, v139
	s_mov_b32 s15, s10
	v_pk_mul_f32 v[158:159], v[158:159], s[10:11]
	v_pk_fma_f32 v[106:107], v[106:107], s[26:27], v[144:145] neg_lo:[0,0,1] neg_hi:[0,0,1]
	v_mov_b32_e32 v140, v52
	v_mov_b32_e32 v141, v51
	v_pk_fma_f32 v[162:163], v[136:137], s[14:15], v[158:159] neg_lo:[1,0,0] neg_hi:[1,0,0]
	v_pk_fma_f32 v[164:165], v[136:137], s[14:15], v[158:159]
	v_mov_b32_e32 v149, v107
	v_pk_fma_f32 v[144:145], v[150:151], s[18:19], v[152:153] neg_lo:[0,0,1] neg_hi:[0,0,1]
	v_mov_b32_e32 v163, v165
	v_pk_add_f32 v[140:141], v[140:141], v[54:55]
	v_mov_b32_e32 v54, v142
	v_mov_b32_e32 v55, v80
	s_mov_b32 s21, s30
	v_pk_add_f32 v[106:107], v[32:33], v[148:149]
	v_mov_b32_e32 v157, v145
	v_pk_fma_f32 v[114:115], v[114:115], s[22:23], v[154:155] neg_lo:[0,0,1] neg_hi:[0,0,1]
	v_pk_add_f32 v[146:147], v[162:163], v[146:147]
	v_mov_b32_e32 v162, v81
	v_mov_b32_e32 v163, v143
	v_pk_mul_f32 v[166:167], v[54:55], s[20:21]
	v_pk_add_f32 v[106:107], v[156:157], v[106:107]
	v_mov_b32_e32 v161, v115
	v_pk_fma_f32 v[114:115], v[136:137], s[14:15], v[158:159] neg_lo:[0,0,1] neg_hi:[0,0,1]
	v_pk_fma_f32 v[54:55], v[162:163], s[30:31], v[166:167] neg_lo:[1,0,0] neg_hi:[1,0,0]
	v_pk_fma_f32 v[168:169], v[162:163], s[30:31], v[166:167]
	v_pk_add_f32 v[106:107], v[160:161], v[106:107]
	v_mov_b32_e32 v165, v115
	v_pk_fma_f32 v[114:115], v[162:163], s[30:31], v[166:167] neg_lo:[0,0,1] neg_hi:[0,0,1]
	v_mov_b32_e32 v55, v169
	v_pk_add_f32 v[106:107], v[164:165], v[106:107]
	v_mov_b32_e32 v169, v115
	v_pk_add_f32 v[106:107], v[168:169], v[106:107]
	s_waitcnt lgkmcnt(0)
	; wave barrier
	ds_write2_b64 v118, v[112:113], v[106:107] offset1:1
	v_pk_mul_f32 v[106:107], v[110:111], s[22:23] op_sel_hi:[1,0]
	v_pk_mul_f32 v[136:137], v[130:131], s[28:29] op_sel_hi:[1,0]
	v_pk_fma_f32 v[112:113], v[102:103], s[16:17], v[106:107] op_sel:[0,0,1] op_sel_hi:[1,0,0]
	v_pk_fma_f32 v[106:107], v[102:103], s[16:17], v[106:107] op_sel:[0,0,1] op_sel_hi:[1,0,0] neg_lo:[0,0,1] neg_hi:[0,0,1]
	s_mov_b32 s18, 0x3f68dda4
	v_mov_b32_e32 v114, v112
	v_mov_b32_e32 v115, v107
	v_pk_fma_f32 v[144:145], v[128:129], s[20:21], v[136:137] op_sel:[0,0,1] op_sel_hi:[1,0,0]
	v_pk_fma_f32 v[136:137], v[128:129], s[20:21], v[136:137] op_sel:[0,0,1] op_sel_hi:[1,0,0] neg_lo:[0,0,1] neg_hi:[0,0,1]
	v_pk_mul_f32 v[150:151], v[134:135], s[18:19] op_sel_hi:[1,0]
	v_mov_b32_e32 v148, v144
	v_mov_b32_e32 v149, v137
	v_pk_fma_f32 v[152:153], v[132:133], s[8:9], v[150:151] op_sel:[0,0,1] op_sel_hi:[1,0,0]
	v_pk_fma_f32 v[150:151], v[132:133], s[8:9], v[150:151] op_sel:[0,0,1] op_sel_hi:[1,0,0] neg_lo:[0,0,1] neg_hi:[0,0,1]
	v_pk_mul_f32 v[156:157], v[108:109], s[26:27] op_sel_hi:[1,0]
	v_pk_add_f32 v[114:115], v[32:33], v[114:115]
	v_pk_add_f32 v[54:55], v[54:55], v[146:147]
	v_pk_mul_f32 v[146:147], v[80:81], s[36:37] op_sel_hi:[1,0]
	v_mov_b32_e32 v154, v152
	v_mov_b32_e32 v155, v151
	v_pk_fma_f32 v[158:159], v[138:139], s[34:35], v[156:157] op_sel:[0,0,1] op_sel_hi:[1,0,0]
	v_pk_fma_f32 v[156:157], v[138:139], s[34:35], v[156:157] op_sel:[0,0,1] op_sel_hi:[1,0,0] neg_lo:[0,0,1] neg_hi:[0,0,1]
	v_pk_add_f32 v[114:115], v[148:149], v[114:115]
	v_pk_mul_f32 v[148:149], v[80:81], s[14:15] op_sel_hi:[1,0]
	v_pk_fma_f32 v[170:171], v[142:143], s[34:35], v[146:147] op_sel:[0,0,1] op_sel_hi:[1,0,0]
	v_pk_fma_f32 v[146:147], v[142:143], s[34:35], v[146:147] op_sel:[0,0,1] op_sel_hi:[1,0,0] neg_lo:[0,0,1] neg_hi:[0,0,1]
	v_mov_b32_e32 v160, v158
	v_mov_b32_e32 v161, v157
	v_pk_add_f32 v[114:115], v[154:155], v[114:115]
	v_pk_fma_f32 v[154:155], v[142:143], s[10:11], v[148:149] op_sel:[0,0,1] op_sel_hi:[1,0,0]
	v_pk_fma_f32 v[148:149], v[142:143], s[10:11], v[148:149] op_sel:[0,0,1] op_sel_hi:[1,0,0] neg_lo:[0,0,1] neg_hi:[0,0,1]
	v_mov_b32_e32 v172, v170
	v_mov_b32_e32 v173, v147
	v_pk_add_f32 v[114:115], v[160:161], v[114:115]
	v_mov_b32_e32 v160, v154
	v_mov_b32_e32 v161, v149
	v_pk_add_f32 v[140:141], v[172:173], v[140:141]
	v_pk_add_f32 v[114:115], v[160:161], v[114:115]
	ds_write2_b64 v118, v[140:141], v[114:115] offset0:2 offset1:3
	v_pk_mul_f32 v[114:115], v[110:111], s[14:15] op_sel_hi:[1,0]
	v_pk_mul_f32 v[162:163], v[130:131], s[24:25] op_sel_hi:[1,0]
	v_pk_fma_f32 v[140:141], v[102:103], s[10:11], v[114:115] op_sel:[0,0,1] op_sel_hi:[1,0,0]
	v_pk_fma_f32 v[114:115], v[102:103], s[10:11], v[114:115] op_sel:[0,0,1] op_sel_hi:[1,0,0] neg_lo:[0,0,1] neg_hi:[0,0,1]
	v_mov_b32_e32 v160, v140
	v_mov_b32_e32 v161, v115
	v_pk_fma_f32 v[164:165], v[128:129], s[16:17], v[162:163] op_sel:[0,0,1] op_sel_hi:[1,0,0]
	v_pk_fma_f32 v[162:163], v[128:129], s[16:17], v[162:163] op_sel:[0,0,1] op_sel_hi:[1,0,0] neg_lo:[0,0,1] neg_hi:[0,0,1]
	v_pk_mul_f32 v[168:169], v[134:135], s[26:27] op_sel_hi:[1,0]
	v_mov_b32_e32 v166, v164
	v_mov_b32_e32 v167, v163
	v_pk_fma_f32 v[172:173], v[132:133], s[34:35], v[168:169] op_sel:[0,0,1] op_sel_hi:[1,0,0]
	v_pk_fma_f32 v[168:169], v[132:133], s[34:35], v[168:169] op_sel:[0,0,1] op_sel_hi:[1,0,0] neg_lo:[0,0,1] neg_hi:[0,0,1]
	v_pk_mul_f32 v[176:177], v[108:109], s[30:31] op_sel_hi:[1,0]
	v_pk_add_f32 v[160:161], v[32:33], v[160:161]
	v_mov_b32_e32 v174, v172
	v_mov_b32_e32 v175, v169
	v_pk_fma_f32 v[178:179], v[138:139], s[20:21], v[176:177] op_sel:[0,0,1] op_sel_hi:[1,0,0]
	v_pk_fma_f32 v[176:177], v[138:139], s[20:21], v[176:177] op_sel:[0,0,1] op_sel_hi:[1,0,0] neg_lo:[0,0,1] neg_hi:[0,0,1]
	v_pk_add_f32 v[160:161], v[166:167], v[160:161]
	v_pk_mul_f32 v[166:167], v[80:81], s[18:19] op_sel_hi:[1,0]
	v_mov_b32_e32 v180, v178
	v_mov_b32_e32 v181, v177
	v_pk_add_f32 v[160:161], v[174:175], v[160:161]
	v_pk_fma_f32 v[174:175], v[142:143], s[8:9], v[166:167] op_sel:[0,0,1] op_sel_hi:[1,0,0]
	v_pk_fma_f32 v[166:167], v[142:143], s[8:9], v[166:167] op_sel:[0,0,1] op_sel_hi:[1,0,0] neg_lo:[0,0,1] neg_hi:[0,0,1]
	v_pk_add_f32 v[160:161], v[180:181], v[160:161]
	v_mov_b32_e32 v180, v174
	v_mov_b32_e32 v181, v167
	v_pk_mul_f32 v[110:111], v[110:111], s[30:31] op_sel_hi:[1,0]
	v_pk_add_f32 v[160:161], v[180:181], v[160:161]
	v_pk_fma_f32 v[180:181], v[102:103], s[20:21], v[110:111] op_sel:[0,0,1] op_sel_hi:[1,0,0]
	v_pk_fma_f32 v[102:103], v[102:103], s[20:21], v[110:111] op_sel:[0,0,1] op_sel_hi:[1,0,0] neg_lo:[0,0,1] neg_hi:[0,0,1]
	v_pk_mul_f32 v[130:131], v[130:131], s[36:37] op_sel_hi:[1,0]
	v_mov_b32_e32 v111, v103
	v_pk_fma_f32 v[182:183], v[128:129], s[34:35], v[130:131] op_sel:[0,0,1] op_sel_hi:[1,0,0]
	v_pk_fma_f32 v[128:129], v[128:129], s[34:35], v[130:131] op_sel:[0,0,1] op_sel_hi:[1,0,0] neg_lo:[0,0,1] neg_hi:[0,0,1]
	v_pk_mul_f32 v[134:135], v[134:135], s[14:15] op_sel_hi:[1,0]
	v_mov_b32_e32 v103, v181
	v_mov_b32_e32 v110, v180
	;; [unrolled: 1-line block ×3, first 2 shown]
	v_pk_fma_f32 v[184:185], v[132:133], s[10:11], v[134:135] op_sel:[0,0,1] op_sel_hi:[1,0,0]
	v_pk_fma_f32 v[132:133], v[132:133], s[10:11], v[134:135] op_sel:[0,0,1] op_sel_hi:[1,0,0] neg_lo:[0,0,1] neg_hi:[0,0,1]
	v_pk_mul_f32 v[108:109], v[108:109], s[18:19] op_sel_hi:[1,0]
	v_mov_b32_e32 v129, v183
	v_pk_add_f32 v[102:103], v[32:33], v[102:103]
	v_mov_b32_e32 v130, v182
	v_mov_b32_e32 v135, v133
	v_pk_fma_f32 v[186:187], v[138:139], s[8:9], v[108:109] op_sel:[0,0,1] op_sel_hi:[1,0,0]
	v_pk_fma_f32 v[108:109], v[138:139], s[8:9], v[108:109] op_sel:[0,0,1] op_sel_hi:[1,0,0] neg_lo:[0,0,1] neg_hi:[0,0,1]
	v_pk_add_f32 v[110:111], v[32:33], v[110:111]
	v_pk_mul_f32 v[80:81], v[80:81], s[22:23] op_sel_hi:[1,0]
	v_mov_b32_e32 v133, v185
	v_pk_add_f32 v[102:103], v[128:129], v[102:103]
	v_mov_b32_e32 v134, v184
	v_mov_b32_e32 v139, v109
	v_pk_add_f32 v[110:111], v[130:131], v[110:111]
	v_pk_fma_f32 v[130:131], v[142:143], s[16:17], v[80:81] op_sel:[0,0,1] op_sel_hi:[1,0,0]
	v_pk_fma_f32 v[80:81], v[142:143], s[16:17], v[80:81] op_sel:[0,0,1] op_sel_hi:[1,0,0] neg_lo:[0,0,1] neg_hi:[0,0,1]
	v_mov_b32_e32 v109, v187
	v_pk_add_f32 v[102:103], v[132:133], v[102:103]
	v_pk_add_f32 v[110:111], v[134:135], v[110:111]
	v_mov_b32_e32 v135, v81
	v_pk_add_f32 v[102:103], v[108:109], v[102:103]
	v_mov_b32_e32 v81, v131
	v_mov_b32_e32 v115, v141
	v_pk_add_f32 v[80:81], v[80:81], v[102:103]
	v_mov_b32_e32 v163, v165
	v_pk_add_f32 v[102:103], v[32:33], v[114:115]
	;; [unrolled: 2-line block ×6, first 2 shown]
	v_mov_b32_e32 v41, v35
	ds_write2_b64 v118, v[80:81], v[102:103] offset0:6 offset1:7
	v_mov_b32_e32 v137, v145
	v_pk_add_f32 v[80:81], v[32:33], v[106:107]
	v_mov_b32_e32 v43, v45
	v_pk_add_f32 v[32:33], v[32:33], v[40:41]
	;; [unrolled: 2-line block ×4, first 2 shown]
	v_mov_b32_e32 v138, v186
	v_mov_b32_e32 v157, v159
	v_pk_add_f32 v[80:81], v[150:151], v[80:81]
	v_mov_b32_e32 v51, v53
	v_pk_add_f32 v[32:33], v[46:47], v[32:33]
	v_pk_add_f32 v[110:111], v[138:139], v[110:111]
	v_mov_b32_e32 v134, v130
	v_pk_add_f32 v[80:81], v[156:157], v[80:81]
	v_mov_b32_e32 v149, v155
	;; [unrolled: 2-line block ×3, first 2 shown]
	v_pk_add_f32 v[110:111], v[134:135], v[110:111]
	v_pk_add_f32 v[80:81], v[148:149], v[80:81]
	;; [unrolled: 1-line block ×3, first 2 shown]
	v_add_u32_e32 v31, 0x400, v116
	ds_write2_b64 v118, v[160:161], v[110:111] offset0:4 offset1:5
	ds_write2_b64 v118, v[80:81], v[32:33] offset0:8 offset1:9
	ds_write_b64 v118, v[54:55] offset:80
	s_waitcnt lgkmcnt(0)
	; wave barrier
	s_waitcnt lgkmcnt(0)
	ds_read2_b64 v[32:35], v116 offset0:176 offset1:208
	ds_read2_b64 v[40:43], v116 offset0:32 offset1:64
	;; [unrolled: 1-line block ×4, first 2 shown]
	ds_read_b64 v[80:81], v117
	ds_read_b64 v[52:53], v116 offset:2432
	v_mov_b32_e32 v90, v91
	v_mov_b32_e32 v102, v88
	;; [unrolled: 1-line block ×4, first 2 shown]
	s_and_saveexec_b64 s[8:9], vcc
	s_cbranch_execz .LBB0_11
; %bb.10:
	ds_read_b64 v[30:31], v116 offset:2688
	ds_read_b64 v[54:55], v104 offset:1280
	s_waitcnt lgkmcnt(1)
	v_mov_b32_e32 v36, v31
.LBB0_11:
	s_or_b64 exec, exec, s[8:9]
	v_mov_b32_e32 v106, v87
	s_waitcnt lgkmcnt(5)
	v_pk_mul_f32 v[108:109], v[86:87], v[32:33] op_sel:[0,1] op_sel_hi:[1,0]
	v_pk_mul_f32 v[106:107], v[106:107], v[32:33] op_sel:[0,1] op_sel_hi:[1,0]
	v_mov_b32_e32 v31, v108
	v_pk_fma_f32 v[106:107], v[86:87], v[32:33], v[106:107]
	v_pk_fma_f32 v[32:33], v[86:87], v[32:33], v[30:31] op_sel:[0,1,0] op_sel_hi:[1,0,1] neg_lo:[1,0,0] neg_hi:[1,0,0]
	v_pk_mul_f32 v[86:87], v[82:83], v[34:35] op_sel:[1,0]
	v_pk_mul_f32 v[110:111], v[84:85], v[36:37] op_sel_hi:[1,0]
	v_pk_fma_f32 v[36:37], v[82:83], v[34:35], v[86:87] op_sel:[0,0,1] op_sel_hi:[1,1,0]
	v_pk_fma_f32 v[34:35], v[82:83], v[34:35], v[86:87] op_sel:[0,0,1] op_sel_hi:[0,1,0] neg_lo:[0,0,1] neg_hi:[0,0,1]
	v_mov_b32_e32 v37, v35
	s_waitcnt lgkmcnt(3)
	v_pk_mul_f32 v[90:91], v[90:91], v[48:49]
	v_pk_add_f32 v[36:37], v[40:41], v[36:37] neg_lo:[0,1] neg_hi:[0,1]
	v_pk_mul_f32 v[88:89], v[88:89], v[50:51]
	v_pk_fma_f32 v[34:35], v[40:41], 2.0, v[36:37] op_sel_hi:[1,0,1] neg_lo:[0,0,1] neg_hi:[0,0,1]
	v_pk_fma_f32 v[40:41], v[38:39], v[48:49], v[90:91] op_sel:[0,0,1] op_sel_hi:[1,1,0]
	v_pk_fma_f32 v[38:39], v[38:39], v[48:49], v[90:91] op_sel:[0,0,1] op_sel_hi:[1,1,0] neg_lo:[0,0,1] neg_hi:[0,0,1]
	v_pk_fma_f32 v[48:49], v[102:103], v[50:51], v[88:89] op_sel:[0,0,1] op_sel_hi:[1,1,0] neg_lo:[0,0,1] neg_hi:[0,0,1]
	v_mov_b32_e32 v41, v39
	v_pk_add_f32 v[40:41], v[42:43], v[40:41] neg_lo:[0,1] neg_hi:[0,1]
	s_waitcnt lgkmcnt(0)
	v_pk_mul_f32 v[108:109], v[92:93], v[52:53] op_sel:[1,0]
	v_pk_fma_f32 v[38:39], v[42:43], 2.0, v[40:41] op_sel_hi:[1,0,1] neg_lo:[0,0,1] neg_hi:[0,0,1]
	v_pk_fma_f32 v[42:43], v[102:103], v[50:51], v[88:89] op_sel:[0,0,1] op_sel_hi:[1,1,0]
	v_pk_fma_f32 v[50:51], v[92:93], v[52:53], v[108:109] op_sel:[0,0,1] op_sel_hi:[0,1,0] neg_lo:[0,0,1] neg_hi:[0,0,1]
	v_mov_b32_e32 v43, v49
	v_pk_add_f32 v[48:49], v[44:45], v[42:43] neg_lo:[0,1] neg_hi:[0,1]
	v_mov_b32_e32 v107, v33
	v_pk_fma_f32 v[42:43], v[44:45], 2.0, v[48:49] op_sel_hi:[1,0,1] neg_lo:[0,0,1] neg_hi:[0,0,1]
	v_pk_fma_f32 v[44:45], v[92:93], v[52:53], v[108:109] op_sel:[0,0,1] op_sel_hi:[1,1,0]
	v_pk_add_f32 v[32:33], v[80:81], v[106:107] neg_lo:[0,1] neg_hi:[0,1]
	v_mov_b32_e32 v45, v51
	v_pk_add_f32 v[44:45], v[46:47], v[44:45] neg_lo:[0,1] neg_hi:[0,1]
	v_pk_fma_f32 v[80:81], v[80:81], 2.0, v[32:33] op_sel_hi:[1,0,1] neg_lo:[0,0,1] neg_hi:[0,0,1]
	v_pk_fma_f32 v[50:51], v[46:47], 2.0, v[44:45] op_sel_hi:[1,0,1] neg_lo:[0,0,1] neg_hi:[0,0,1]
	v_pk_fma_f32 v[46:47], v[84:85], v[30:31], v[110:111] op_sel:[0,0,1] op_sel_hi:[1,1,0]
	v_pk_fma_f32 v[30:31], v[84:85], v[30:31], v[110:111] op_sel:[0,0,1] op_sel_hi:[1,0,0] neg_lo:[1,0,0] neg_hi:[1,0,0]
	s_nop 0
	v_mov_b32_e32 v47, v31
	v_pk_add_f32 v[52:53], v[54:55], v[46:47] neg_lo:[0,1] neg_hi:[0,1]
	; wave barrier
	s_nop 0
	v_pk_fma_f32 v[46:47], v[54:55], 2.0, v[52:53] op_sel_hi:[1,0,1] neg_lo:[0,0,1] neg_hi:[0,0,1]
	ds_write2_b64 v121, v[80:81], v[32:33] offset1:11
	ds_write2_b64 v122, v[34:35], v[36:37] offset1:11
	;; [unrolled: 1-line block ×5, first 2 shown]
	s_and_saveexec_b64 s[8:9], vcc
	s_cbranch_execz .LBB0_13
; %bb.12:
	v_add_u32_sdwa v30, v125, v120 dst_sel:DWORD dst_unused:UNUSED_PAD src0_sel:DWORD src1_sel:BYTE_0
	v_lshl_add_u32 v30, v30, 3, v105
	ds_write2_b64 v30, v[46:47], v[52:53] offset1:11
.LBB0_13:
	s_or_b64 exec, exec, s[8:9]
	s_waitcnt lgkmcnt(0)
	; wave barrier
	s_waitcnt lgkmcnt(0)
	s_and_saveexec_b64 s[8:9], s[2:3]
	s_xor_b64 s[2:3], exec, s[8:9]
	s_andn2_saveexec_b64 s[2:3], s[2:3]
	s_cbranch_execz .LBB0_15
; %bb.14:
	ds_read2_b64 v[32:35], v116 offset0:22 offset1:44
	ds_read2_b64 v[36:39], v116 offset0:66 offset1:88
	;; [unrolled: 1-line block ×4, first 2 shown]
	v_add_u32_e32 v28, 0x800, v116
	ds_read_b64 v[80:81], v117
	ds_read_b64 v[96:97], v116 offset:2640
	ds_read2_b64 v[28:31], v28 offset0:30 offset1:52
	v_add_u32_e32 v44, 0x400, v116
	ds_read2_b64 v[52:55], v44 offset0:114 offset1:136
	ds_read2_b64 v[44:47], v116 offset0:198 offset1:220
	s_waitcnt lgkmcnt(3)
	v_mov_b32_e32 v100, v97
	s_waitcnt lgkmcnt(2)
	v_mov_b32_e32 v101, v31
	v_mov_b32_e32 v98, v29
	s_waitcnt lgkmcnt(1)
	v_mov_b32_e32 v99, v55
	v_mov_b32_e32 v97, v30
	;; [unrolled: 1-line block ×3, first 2 shown]
.LBB0_15:
	s_or_b64 exec, exec, s[2:3]
	s_and_saveexec_b64 s[2:3], s[0:1]
	s_cbranch_execz .LBB0_17
; %bb.16:
	v_pk_mul_f32 v[82:83], v[6:7], v[42:43] op_sel:[0,1]
	v_pk_mul_f32 v[84:85], v[22:23], v[100:101] op_sel:[0,1]
	v_pk_fma_f32 v[114:115], v[6:7], v[42:43], v[82:83] op_sel:[0,0,1] op_sel_hi:[1,1,0]
	v_pk_fma_f32 v[6:7], v[6:7], v[42:43], v[82:83] op_sel:[0,0,1] op_sel_hi:[1,0,0] neg_lo:[1,0,0] neg_hi:[1,0,0]
	v_pk_mul_f32 v[30:31], v[2:3], v[34:35] op_sel:[0,1]
	v_mov_b32_e32 v115, v7
	v_pk_fma_f32 v[6:7], v[22:23], v[96:97], v[84:85] op_sel:[0,1,1] op_sel_hi:[1,1,0]
	v_pk_fma_f32 v[22:23], v[22:23], v[96:97], v[84:85] op_sel:[0,1,1] op_sel_hi:[1,1,0] neg_lo:[1,0,0] neg_hi:[1,0,0]
	s_waitcnt lgkmcnt(0)
	v_pk_mul_f32 v[54:55], v[18:19], v[46:47] op_sel:[0,1]
	v_mov_b32_e32 v7, v23
	v_pk_fma_f32 v[22:23], v[2:3], v[34:35], v[30:31] op_sel:[0,0,1] op_sel_hi:[1,1,0]
	v_pk_fma_f32 v[2:3], v[2:3], v[34:35], v[30:31] op_sel:[0,0,1] op_sel_hi:[1,0,0] neg_lo:[1,0,0] neg_hi:[1,0,0]
	v_pk_mul_f32 v[88:89], v[10:11], v[38:39] op_sel:[0,1]
	v_mov_b32_e32 v23, v3
	v_pk_fma_f32 v[2:3], v[18:19], v[46:47], v[54:55] op_sel:[0,0,1] op_sel_hi:[1,1,0]
	v_pk_fma_f32 v[18:19], v[18:19], v[46:47], v[54:55] op_sel:[0,0,1] op_sel_hi:[1,0,0] neg_lo:[1,0,0] neg_hi:[1,0,0]
	;; [unrolled: 4-line block ×5, first 2 shown]
	v_pk_mul_f32 v[100:101], v[94:95], v[100:101] op_sel_hi:[1,0]
	v_mov_b32_e32 v27, v15
	v_pk_add_f32 v[14:15], v[80:81], v[26:27] neg_lo:[0,1] neg_hi:[0,1]
	v_pk_fma_f32 v[26:27], v[12:13], v[48:49], v[106:107] op_sel:[0,0,1] op_sel_hi:[1,1,0]
	v_pk_fma_f32 v[12:13], v[12:13], v[48:49], v[106:107] op_sel:[0,0,1] op_sel_hi:[1,0,0] neg_lo:[1,0,0] neg_hi:[1,0,0]
	v_pk_mul_f32 v[92:93], v[8:9], v[36:37] op_sel:[0,1]
	v_mov_b32_e32 v27, v13
	v_pk_fma_f32 v[12:13], v[94:95], v[96:97], v[100:101] op_sel:[0,0,1] op_sel_hi:[1,1,0]
	v_pk_fma_f32 v[30:31], v[94:95], v[96:97], v[100:101] op_sel:[0,0,1] op_sel_hi:[1,0,0] neg_lo:[1,0,0] neg_hi:[1,0,0]
	v_pk_mul_f32 v[102:103], v[24:25], v[52:53] op_sel:[0,1]
	v_mov_b32_e32 v13, v31
	v_pk_fma_f32 v[30:31], v[8:9], v[36:37], v[92:93] op_sel:[0,0,1] op_sel_hi:[1,1,0]
	v_pk_fma_f32 v[8:9], v[8:9], v[36:37], v[92:93] op_sel:[0,0,1] op_sel_hi:[1,0,0] neg_lo:[1,0,0] neg_hi:[1,0,0]
	v_pk_mul_f32 v[112:113], v[4:5], v[40:41] op_sel:[0,1]
	v_mov_b32_e32 v31, v9
	v_pk_fma_f32 v[8:9], v[24:25], v[52:53], v[102:103] op_sel:[0,0,1] op_sel_hi:[1,1,0]
	v_pk_fma_f32 v[24:25], v[24:25], v[52:53], v[102:103] op_sel:[0,0,1] op_sel_hi:[1,0,0] neg_lo:[1,0,0] neg_hi:[1,0,0]
	v_pk_mul_f32 v[98:99], v[20:21], v[98:99] op_sel_hi:[1,0]
	v_mov_b32_e32 v9, v25
	v_pk_fma_f32 v[24:25], v[4:5], v[40:41], v[112:113] op_sel:[0,0,1] op_sel_hi:[1,1,0]
	v_pk_fma_f32 v[4:5], v[4:5], v[40:41], v[112:113] op_sel:[0,0,1] op_sel_hi:[1,0,0] neg_lo:[1,0,0] neg_hi:[1,0,0]
	v_pk_mul_f32 v[108:109], v[0:1], v[32:33] op_sel:[0,1]
	v_mov_b32_e32 v25, v5
	v_pk_fma_f32 v[4:5], v[20:21], v[28:29], v[98:99] op_sel:[0,0,1] op_sel_hi:[1,1,0]
	v_pk_fma_f32 v[20:21], v[20:21], v[28:29], v[98:99] op_sel:[0,0,1] op_sel_hi:[1,0,0] neg_lo:[1,0,0] neg_hi:[1,0,0]
	v_pk_mul_f32 v[110:111], v[16:17], v[44:45] op_sel:[0,1]
	v_mov_b32_e32 v5, v21
	v_pk_fma_f32 v[20:21], v[0:1], v[32:33], v[108:109] op_sel:[0,0,1] op_sel_hi:[1,1,0]
	v_pk_fma_f32 v[0:1], v[0:1], v[32:33], v[108:109] op_sel:[0,0,1] op_sel_hi:[1,0,0] neg_lo:[1,0,0] neg_hi:[1,0,0]
	v_pk_add_f32 v[6:7], v[114:115], v[6:7] neg_lo:[0,1] neg_hi:[0,1]
	v_mov_b32_e32 v21, v1
	v_pk_fma_f32 v[0:1], v[16:17], v[44:45], v[110:111] op_sel:[0,0,1] op_sel_hi:[1,1,0]
	v_pk_fma_f32 v[16:17], v[16:17], v[44:45], v[110:111] op_sel:[0,0,1] op_sel_hi:[1,0,0] neg_lo:[1,0,0] neg_hi:[1,0,0]
	v_pk_add_f32 v[2:3], v[22:23], v[2:3] neg_lo:[0,1] neg_hi:[0,1]
	v_mov_b32_e32 v1, v17
	v_pk_add_f32 v[10:11], v[18:19], v[10:11] neg_lo:[0,1] neg_hi:[0,1]
	v_pk_add_f32 v[12:13], v[26:27], v[12:13] neg_lo:[0,1] neg_hi:[0,1]
	;; [unrolled: 1-line block ×5, first 2 shown]
	v_pk_fma_f32 v[16:17], v[22:23], 2.0, v[2:3] op_sel_hi:[1,0,1] neg_lo:[0,0,1] neg_hi:[0,0,1]
	v_pk_fma_f32 v[22:23], v[114:115], 2.0, v[6:7] op_sel_hi:[1,0,1] neg_lo:[0,0,1] neg_hi:[0,0,1]
	;; [unrolled: 1-line block ×8, first 2 shown]
	v_pk_add_f32 v[22:23], v[16:17], v[22:23] neg_lo:[0,1] neg_hi:[0,1]
	v_pk_add_f32 v[18:19], v[28:29], v[18:19] neg_lo:[0,1] neg_hi:[0,1]
	v_pk_add_f32 v[26:27], v[30:31], v[26:27] neg_lo:[0,1] neg_hi:[0,1]
	v_pk_add_f32 v[24:25], v[20:21], v[24:25] neg_lo:[0,1] neg_hi:[0,1]
	v_pk_fma_f32 v[28:29], v[28:29], 2.0, v[18:19] op_sel_hi:[1,0,1] neg_lo:[0,0,1] neg_hi:[0,0,1]
	v_pk_fma_f32 v[16:17], v[16:17], 2.0, v[22:23] op_sel_hi:[1,0,1] neg_lo:[0,0,1] neg_hi:[0,0,1]
	;; [unrolled: 1-line block ×4, first 2 shown]
	v_pk_add_f32 v[16:17], v[28:29], v[16:17] neg_lo:[0,1] neg_hi:[0,1]
	v_pk_add_f32 v[30:31], v[20:21], v[30:31] neg_lo:[0,1] neg_hi:[0,1]
	v_pk_fma_f32 v[28:29], v[28:29], 2.0, v[16:17] op_sel_hi:[1,0,1] neg_lo:[0,0,1] neg_hi:[0,0,1]
	v_pk_fma_f32 v[20:21], v[20:21], 2.0, v[30:31] op_sel_hi:[1,0,1] neg_lo:[0,0,1] neg_hi:[0,0,1]
	s_mov_b32 s0, 0x3f3504f3
	v_pk_add_f32 v[20:21], v[28:29], v[20:21] neg_lo:[0,1] neg_hi:[0,1]
	s_mov_b32 s8, 0x3ec3ef15
	v_pk_fma_f32 v[28:29], v[28:29], 2.0, v[20:21] op_sel_hi:[1,0,1] neg_lo:[0,0,1] neg_hi:[0,0,1]
	ds_write_b64 v117, v[28:29]
	v_pk_add_f32 v[28:29], v[2:3], v[6:7] op_sel:[0,1] op_sel_hi:[1,0]
	v_pk_add_f32 v[6:7], v[2:3], v[6:7] op_sel:[0,1] op_sel_hi:[1,0] neg_lo:[0,1] neg_hi:[0,1]
	s_mov_b32 s10, 0x3f6c835e
	v_mov_b32_e32 v29, v7
	v_pk_add_f32 v[6:7], v[14:15], v[10:11] op_sel:[0,1] op_sel_hi:[1,0]
	v_pk_add_f32 v[10:11], v[14:15], v[10:11] op_sel:[0,1] op_sel_hi:[1,0] neg_lo:[0,1] neg_hi:[0,1]
	v_pk_fma_f32 v[2:3], v[2:3], 2.0, v[28:29] op_sel_hi:[1,0,1] neg_lo:[0,0,1] neg_hi:[0,0,1]
	v_mov_b32_e32 v7, v11
	v_pk_add_f32 v[10:11], v[8:9], v[12:13] op_sel:[0,1] op_sel_hi:[1,0]
	v_pk_add_f32 v[12:13], v[8:9], v[12:13] op_sel:[0,1] op_sel_hi:[1,0] neg_lo:[0,1] neg_hi:[0,1]
	v_pk_fma_f32 v[14:15], v[14:15], 2.0, v[6:7] op_sel_hi:[1,0,1] neg_lo:[0,0,1] neg_hi:[0,0,1]
	v_mov_b32_e32 v11, v13
	v_pk_add_f32 v[12:13], v[0:1], v[4:5] op_sel:[0,1] op_sel_hi:[1,0]
	v_pk_add_f32 v[4:5], v[0:1], v[4:5] op_sel:[0,1] op_sel_hi:[1,0] neg_lo:[0,1] neg_hi:[0,1]
	s_nop 0
	v_mov_b32_e32 v13, v5
	v_pk_mul_f32 v[4:5], v[2:3], s[0:1] op_sel_hi:[1,0]
	v_pk_fma_f32 v[2:3], v[2:3], s[0:1], v[14:15] op_sel_hi:[1,0,1] neg_lo:[1,0,0] neg_hi:[1,0,0]
	v_pk_fma_f32 v[0:1], v[0:1], 2.0, v[12:13] op_sel_hi:[1,0,1] neg_lo:[0,0,1] neg_hi:[0,0,1]
	v_pk_add_f32 v[32:33], v[2:3], v[4:5] op_sel:[0,1] op_sel_hi:[1,0]
	v_pk_add_f32 v[2:3], v[2:3], v[4:5] op_sel:[0,1] op_sel_hi:[1,0] neg_lo:[0,1] neg_hi:[0,1]
	v_pk_fma_f32 v[4:5], v[8:9], 2.0, v[10:11] op_sel_hi:[1,0,1] neg_lo:[0,0,1] neg_hi:[0,0,1]
	v_mov_b32_e32 v33, v3
	v_pk_mul_f32 v[8:9], v[4:5], s[0:1] op_sel_hi:[1,0]
	v_pk_fma_f32 v[4:5], v[4:5], s[0:1], v[0:1] op_sel_hi:[1,0,1] neg_lo:[1,0,0] neg_hi:[1,0,0]
	s_nop 0
	v_pk_add_f32 v[34:35], v[4:5], v[8:9] op_sel:[0,1] op_sel_hi:[1,0]
	v_pk_add_f32 v[4:5], v[4:5], v[8:9] op_sel:[0,1] op_sel_hi:[1,0] neg_lo:[0,1] neg_hi:[0,1]
	v_fmamk_f32 v8, v34, 0x3ec3ef15, v32
	v_mov_b32_e32 v35, v5
	v_fmamk_f32 v2, v5, 0x3ec3ef15, v3
	v_fmac_f32_e32 v8, 0x3f6c835e, v5
	v_pk_fma_f32 v[0:1], v[0:1], 2.0, v[34:35] op_sel_hi:[1,0,1] neg_lo:[0,0,1] neg_hi:[0,0,1]
	v_pk_fma_f32 v[4:5], v[14:15], 2.0, v[32:33] op_sel_hi:[1,0,1] neg_lo:[0,0,1] neg_hi:[0,0,1]
	v_pk_mul_f32 v[14:15], v[0:1], s[8:9] op_sel_hi:[1,0]
	v_pk_fma_f32 v[0:1], v[0:1], s[10:11], v[4:5] op_sel_hi:[1,0,1] neg_lo:[1,0,0] neg_hi:[1,0,0]
	v_fmamk_f32 v9, v34, 0xbf6c835e, v2
	v_fma_f32 v2, v32, 2.0, -v8
	v_pk_add_f32 v[32:33], v[0:1], v[14:15] op_sel:[0,1] op_sel_hi:[1,0]
	v_pk_add_f32 v[0:1], v[0:1], v[14:15] op_sel:[0,1] op_sel_hi:[1,0] neg_lo:[0,1] neg_hi:[0,1]
	v_pk_add_f32 v[14:15], v[18:19], v[22:23] op_sel:[0,1] op_sel_hi:[1,0] neg_lo:[0,1] neg_hi:[0,1]
	v_mov_b32_e32 v33, v1
	v_pk_fma_f32 v[0:1], v[4:5], 2.0, v[32:33] op_sel_hi:[1,0,1] neg_lo:[0,0,1] neg_hi:[0,0,1]
	v_pk_add_f32 v[4:5], v[18:19], v[22:23] op_sel:[0,1] op_sel_hi:[1,0]
	v_pk_add_f32 v[22:23], v[24:25], v[26:27] op_sel:[0,1] op_sel_hi:[1,0] neg_lo:[0,1] neg_hi:[0,1]
	v_mov_b32_e32 v5, v15
	v_pk_add_f32 v[14:15], v[24:25], v[26:27] op_sel:[0,1] op_sel_hi:[1,0]
	v_pk_fma_f32 v[18:19], v[18:19], 2.0, v[4:5] op_sel_hi:[1,0,1] neg_lo:[0,0,1] neg_hi:[0,0,1]
	v_mov_b32_e32 v15, v23
	v_pk_fma_f32 v[22:23], v[24:25], 2.0, v[14:15] op_sel_hi:[1,0,1] neg_lo:[0,0,1] neg_hi:[0,0,1]
	v_fma_f32 v3, v3, 2.0, -v9
	v_pk_mul_f32 v[24:25], v[22:23], s[0:1] op_sel_hi:[1,0]
	v_pk_fma_f32 v[22:23], v[22:23], s[0:1], v[18:19] op_sel_hi:[1,0,1] neg_lo:[1,0,0] neg_hi:[1,0,0]
	s_nop 0
	v_pk_add_f32 v[26:27], v[22:23], v[24:25] op_sel:[0,1] op_sel_hi:[1,0]
	v_pk_add_f32 v[22:23], v[22:23], v[24:25] op_sel:[0,1] op_sel_hi:[1,0] neg_lo:[0,1] neg_hi:[0,1]
	s_nop 0
	v_mov_b32_e32 v27, v23
	v_pk_fma_f32 v[18:19], v[18:19], 2.0, v[26:27] op_sel_hi:[1,0,1] neg_lo:[0,0,1] neg_hi:[0,0,1]
	ds_write2_b64 v116, v[0:1], v[18:19] offset0:22 offset1:44
	v_pk_mul_f32 v[0:1], v[28:29], s[0:1] op_sel_hi:[1,0]
	v_pk_fma_f32 v[18:19], v[28:29], s[0:1], v[6:7] op_sel_hi:[1,0,1]
	s_nop 0
	v_pk_add_f32 v[22:23], v[18:19], v[0:1] op_sel:[0,1] op_sel_hi:[1,0]
	v_pk_add_f32 v[0:1], v[18:19], v[0:1] op_sel:[0,1] op_sel_hi:[1,0] neg_lo:[0,1] neg_hi:[0,1]
	v_pk_mul_f32 v[18:19], v[10:11], s[0:1] op_sel_hi:[1,0]
	v_pk_fma_f32 v[10:11], v[10:11], s[0:1], v[12:13] op_sel_hi:[1,0,1]
	v_mov_b32_e32 v23, v1
	v_pk_add_f32 v[24:25], v[10:11], v[18:19] op_sel:[0,1] op_sel_hi:[1,0]
	v_pk_add_f32 v[10:11], v[10:11], v[18:19] op_sel:[0,1] op_sel_hi:[1,0] neg_lo:[0,1] neg_hi:[0,1]
	v_fmamk_f32 v18, v24, 0x3f6c835e, v22
	v_mov_b32_e32 v25, v11
	v_fmamk_f32 v0, v11, 0x3f6c835e, v1
	v_fmac_f32_e32 v18, 0x3ec3ef15, v11
	v_pk_fma_f32 v[10:11], v[12:13], 2.0, v[24:25] op_sel_hi:[1,0,1] neg_lo:[0,0,1] neg_hi:[0,0,1]
	v_pk_fma_f32 v[6:7], v[6:7], 2.0, v[22:23] op_sel_hi:[1,0,1] neg_lo:[0,0,1] neg_hi:[0,0,1]
	v_pk_mul_f32 v[12:13], v[10:11], s[10:11] op_sel_hi:[1,0]
	v_pk_fma_f32 v[10:11], v[10:11], s[8:9], v[6:7] op_sel_hi:[1,0,1] neg_lo:[1,0,0] neg_hi:[1,0,0]
	v_fmamk_f32 v19, v24, 0xbec3ef15, v0
	v_fma_f32 v0, v22, 2.0, -v18
	v_pk_add_f32 v[22:23], v[10:11], v[12:13] op_sel:[0,1] op_sel_hi:[1,0]
	v_pk_add_f32 v[10:11], v[10:11], v[12:13] op_sel:[0,1] op_sel_hi:[1,0] neg_lo:[0,1] neg_hi:[0,1]
	v_pk_add_f32 v[12:13], v[16:17], v[30:31] op_sel:[0,1] op_sel_hi:[1,0] neg_lo:[0,1] neg_hi:[0,1]
	v_mov_b32_e32 v23, v11
	v_pk_add_f32 v[10:11], v[16:17], v[30:31] op_sel:[0,1] op_sel_hi:[1,0]
	v_pk_fma_f32 v[6:7], v[6:7], 2.0, v[22:23] op_sel_hi:[1,0,1] neg_lo:[0,0,1] neg_hi:[0,0,1]
	v_mov_b32_e32 v11, v13
	v_pk_fma_f32 v[12:13], v[16:17], 2.0, v[10:11] op_sel_hi:[1,0,1] neg_lo:[0,0,1] neg_hi:[0,0,1]
	ds_write2_b64 v116, v[6:7], v[12:13] offset0:66 offset1:88
	v_pk_mul_f32 v[6:7], v[14:15], s[0:1] op_sel_hi:[1,0]
	v_pk_fma_f32 v[12:13], v[14:15], s[0:1], v[4:5] op_sel_hi:[1,0,1]
	v_fma_f32 v1, v1, 2.0, -v19
	v_pk_add_f32 v[14:15], v[12:13], v[6:7] op_sel:[0,1] op_sel_hi:[1,0]
	v_pk_add_f32 v[6:7], v[12:13], v[6:7] op_sel:[0,1] op_sel_hi:[1,0] neg_lo:[0,1] neg_hi:[0,1]
	s_nop 0
	v_mov_b32_e32 v15, v7
	v_pk_fma_f32 v[4:5], v[4:5], 2.0, v[14:15] op_sel_hi:[1,0,1] neg_lo:[0,0,1] neg_hi:[0,0,1]
	ds_write2_b64 v116, v[2:3], v[4:5] offset0:110 offset1:132
	ds_write2_b64 v116, v[0:1], v[20:21] offset0:154 offset1:176
	;; [unrolled: 1-line block ×3, first 2 shown]
	v_add_u32_e32 v0, 0x400, v116
	ds_write2_b64 v0, v[22:23], v[10:11] offset0:114 offset1:136
	v_add_u32_e32 v0, 0x800, v116
	ds_write2_b64 v0, v[8:9], v[14:15] offset0:30 offset1:52
	ds_write_b64 v116, v[18:19] offset:2640
.LBB0_17:
	s_or_b64 exec, exec, s[2:3]
	s_waitcnt lgkmcnt(0)
	; wave barrier
	s_waitcnt lgkmcnt(0)
	ds_read_b64 v[2:3], v117
	v_mad_u64_u32 v[6:7], s[0:1], s6, v78, 0
	v_mov_b32_e32 v0, v7
	v_mad_u64_u32 v[0:1], s[0:1], s7, v78, v[0:1]
	v_mov_b32_e32 v7, v0
	s_waitcnt lgkmcnt(0)
	v_mul_f32_e32 v0, v77, v3
	v_fmac_f32_e32 v0, v76, v2
	s_mov_b32 s0, 0x745d1746
	v_cvt_f64_f32_e32 v[0:1], v0
	s_mov_b32 s1, 0x3f6745d1
	v_mul_f64 v[0:1], v[0:1], s[0:1]
	v_cvt_f32_f64_e32 v12, v[0:1]
	v_mul_f32_e32 v0, v77, v2
	v_fma_f32 v0, v76, v3, -v0
	v_cvt_f64_f32_e32 v[0:1], v0
	v_mul_f64 v[0:1], v[0:1], s[0:1]
	v_mad_u64_u32 v[14:15], s[2:3], s4, v79, 0
	v_cvt_f32_f64_e32 v13, v[0:1]
	v_mov_b32_e32 v0, v15
	ds_read_b64 v[8:9], v104 offset:1280
	ds_read_b64 v[10:11], v116 offset:2560
	v_mad_u64_u32 v[16:17], s[2:3], s5, v79, v[0:1]
	ds_read2_b64 v[0:3], v116 offset0:32 offset1:64
	v_mov_b32_e32 v4, s12
	v_mov_b32_e32 v5, s13
	v_lshl_add_u64 v[4:5], v[6:7], 3, v[4:5]
	v_mov_b32_e32 v15, v16
	s_waitcnt lgkmcnt(0)
	v_mul_f32_e32 v6, v75, v1
	v_fmac_f32_e32 v6, v74, v0
	v_mul_f32_e32 v0, v75, v0
	v_fma_f32 v0, v74, v1, -v0
	v_cvt_f64_f32_e32 v[6:7], v6
	v_cvt_f64_f32_e32 v[0:1], v0
	v_mul_f64 v[6:7], v[6:7], s[0:1]
	v_mul_f64 v[0:1], v[0:1], s[0:1]
	v_cvt_f32_f64_e32 v6, v[6:7]
	v_cvt_f32_f64_e32 v7, v[0:1]
	v_mul_f32_e32 v0, v73, v3
	v_fmac_f32_e32 v0, v72, v2
	v_lshl_add_u64 v[4:5], v[14:15], 3, v[4:5]
	s_lshl_b64 s[2:3], s[4:5], 8
	v_cvt_f64_f32_e32 v[0:1], v0
	global_store_dwordx2 v[4:5], v[12:13], off
	v_lshl_add_u64 v[4:5], v[4:5], 0, s[2:3]
	v_mul_f64 v[0:1], v[0:1], s[0:1]
	global_store_dwordx2 v[4:5], v[6:7], off
	v_cvt_f32_f64_e32 v6, v[0:1]
	v_mul_f32_e32 v0, v73, v2
	v_fma_f32 v0, v72, v3, -v0
	v_cvt_f64_f32_e32 v[12:13], v0
	ds_read2_b64 v[0:3], v116 offset0:96 offset1:128
	v_mul_f64 v[12:13], v[12:13], s[0:1]
	v_cvt_f32_f64_e32 v7, v[12:13]
	v_lshl_add_u64 v[4:5], v[4:5], 0, s[2:3]
	global_store_dwordx2 v[4:5], v[6:7], off
	s_waitcnt lgkmcnt(0)
	v_mul_f32_e32 v6, v69, v1
	v_fmac_f32_e32 v6, v68, v0
	v_mul_f32_e32 v0, v69, v0
	v_fma_f32 v0, v68, v1, -v0
	v_cvt_f64_f32_e32 v[6:7], v6
	v_cvt_f64_f32_e32 v[0:1], v0
	v_mul_f64 v[6:7], v[6:7], s[0:1]
	v_mul_f64 v[0:1], v[0:1], s[0:1]
	v_cvt_f32_f64_e32 v6, v[6:7]
	v_cvt_f32_f64_e32 v7, v[0:1]
	v_lshl_add_u64 v[0:1], v[4:5], 0, s[2:3]
	v_mul_f32_e32 v4, v67, v3
	v_fmac_f32_e32 v4, v66, v2
	v_mul_f32_e32 v2, v67, v2
	global_store_dwordx2 v[0:1], v[6:7], off
	v_fma_f32 v2, v66, v3, -v2
	v_lshl_add_u64 v[6:7], v[0:1], 0, s[2:3]
	v_mul_f32_e32 v0, v71, v9
	v_cvt_f64_f32_e32 v[4:5], v4
	v_cvt_f64_f32_e32 v[2:3], v2
	v_fmac_f32_e32 v0, v70, v8
	v_mul_f64 v[4:5], v[4:5], s[0:1]
	v_mul_f64 v[2:3], v[2:3], s[0:1]
	v_cvt_f64_f32_e32 v[0:1], v0
	v_cvt_f32_f64_e32 v4, v[4:5]
	v_cvt_f32_f64_e32 v5, v[2:3]
	v_mul_f64 v[0:1], v[0:1], s[0:1]
	global_store_dwordx2 v[6:7], v[4:5], off
	v_cvt_f32_f64_e32 v4, v[0:1]
	v_mul_f32_e32 v0, v71, v8
	v_fma_f32 v0, v70, v9, -v0
	v_cvt_f64_f32_e32 v[8:9], v0
	ds_read2_b64 v[0:3], v116 offset0:192 offset1:224
	v_mul_f64 v[8:9], v[8:9], s[0:1]
	v_cvt_f32_f64_e32 v5, v[8:9]
	v_lshl_add_u64 v[6:7], v[6:7], 0, s[2:3]
	global_store_dwordx2 v[6:7], v[4:5], off
	s_waitcnt lgkmcnt(0)
	v_mul_f32_e32 v4, v65, v1
	v_fmac_f32_e32 v4, v64, v0
	v_mul_f32_e32 v0, v65, v0
	v_fma_f32 v0, v64, v1, -v0
	v_cvt_f64_f32_e32 v[4:5], v4
	v_cvt_f64_f32_e32 v[0:1], v0
	v_mul_f64 v[4:5], v[4:5], s[0:1]
	v_mul_f64 v[0:1], v[0:1], s[0:1]
	v_cvt_f32_f64_e32 v4, v[4:5]
	v_cvt_f32_f64_e32 v5, v[0:1]
	v_mul_f32_e32 v0, v63, v3
	v_fmac_f32_e32 v0, v62, v2
	v_cvt_f64_f32_e32 v[0:1], v0
	v_lshl_add_u64 v[6:7], v[6:7], 0, s[2:3]
	v_mul_f64 v[0:1], v[0:1], s[0:1]
	global_store_dwordx2 v[6:7], v[4:5], off
	v_cvt_f32_f64_e32 v4, v[0:1]
	v_mul_f32_e32 v0, v63, v2
	v_fma_f32 v0, v62, v3, -v0
	v_cvt_f64_f32_e32 v[8:9], v0
	v_add_u32_e32 v0, 0x800, v116
	ds_read2_b64 v[0:3], v0 offset1:32
	v_mul_f64 v[8:9], v[8:9], s[0:1]
	v_cvt_f32_f64_e32 v5, v[8:9]
	v_lshl_add_u64 v[6:7], v[6:7], 0, s[2:3]
	global_store_dwordx2 v[6:7], v[4:5], off
	s_waitcnt lgkmcnt(0)
	v_mul_f32_e32 v4, v59, v1
	v_fmac_f32_e32 v4, v58, v0
	v_mul_f32_e32 v0, v59, v0
	v_fma_f32 v0, v58, v1, -v0
	v_cvt_f64_f32_e32 v[4:5], v4
	v_cvt_f64_f32_e32 v[0:1], v0
	v_mul_f64 v[4:5], v[4:5], s[0:1]
	v_mul_f64 v[0:1], v[0:1], s[0:1]
	v_cvt_f32_f64_e32 v4, v[4:5]
	v_cvt_f32_f64_e32 v5, v[0:1]
	v_lshl_add_u64 v[0:1], v[6:7], 0, s[2:3]
	global_store_dwordx2 v[0:1], v[4:5], off
	v_mul_f32_e32 v4, v61, v3
	v_fmac_f32_e32 v4, v60, v2
	v_mul_f32_e32 v2, v61, v2
	v_fma_f32 v2, v60, v3, -v2
	v_cvt_f64_f32_e32 v[4:5], v4
	v_cvt_f64_f32_e32 v[2:3], v2
	v_mul_f64 v[4:5], v[4:5], s[0:1]
	v_mul_f64 v[2:3], v[2:3], s[0:1]
	v_cvt_f32_f64_e32 v4, v[4:5]
	v_cvt_f32_f64_e32 v5, v[2:3]
	v_mul_f32_e32 v2, v57, v11
	v_fmac_f32_e32 v2, v56, v10
	v_cvt_f64_f32_e32 v[2:3], v2
	v_mul_f64 v[2:3], v[2:3], s[0:1]
	v_cvt_f32_f64_e32 v2, v[2:3]
	v_mul_f32_e32 v3, v57, v10
	v_lshl_add_u64 v[0:1], v[0:1], 0, s[2:3]
	v_fma_f32 v3, v56, v11, -v3
	global_store_dwordx2 v[0:1], v[4:5], off
	v_cvt_f64_f32_e32 v[4:5], v3
	v_mul_f64 v[4:5], v[4:5], s[0:1]
	v_cvt_f32_f64_e32 v3, v[4:5]
	v_lshl_add_u64 v[0:1], v[0:1], 0, s[2:3]
	global_store_dwordx2 v[0:1], v[2:3], off
.LBB0_18:
	s_endpgm
	.section	.rodata,"a",@progbits
	.p2align	6, 0x0
	.amdhsa_kernel bluestein_single_back_len352_dim1_sp_op_CI_CI
		.amdhsa_group_segment_fixed_size 5632
		.amdhsa_private_segment_fixed_size 0
		.amdhsa_kernarg_size 104
		.amdhsa_user_sgpr_count 2
		.amdhsa_user_sgpr_dispatch_ptr 0
		.amdhsa_user_sgpr_queue_ptr 0
		.amdhsa_user_sgpr_kernarg_segment_ptr 1
		.amdhsa_user_sgpr_dispatch_id 0
		.amdhsa_user_sgpr_kernarg_preload_length 0
		.amdhsa_user_sgpr_kernarg_preload_offset 0
		.amdhsa_user_sgpr_private_segment_size 0
		.amdhsa_uses_dynamic_stack 0
		.amdhsa_enable_private_segment 0
		.amdhsa_system_sgpr_workgroup_id_x 1
		.amdhsa_system_sgpr_workgroup_id_y 0
		.amdhsa_system_sgpr_workgroup_id_z 0
		.amdhsa_system_sgpr_workgroup_info 0
		.amdhsa_system_vgpr_workitem_id 0
		.amdhsa_next_free_vgpr 188
		.amdhsa_next_free_sgpr 38
		.amdhsa_accum_offset 188
		.amdhsa_reserve_vcc 1
		.amdhsa_float_round_mode_32 0
		.amdhsa_float_round_mode_16_64 0
		.amdhsa_float_denorm_mode_32 3
		.amdhsa_float_denorm_mode_16_64 3
		.amdhsa_dx10_clamp 1
		.amdhsa_ieee_mode 1
		.amdhsa_fp16_overflow 0
		.amdhsa_tg_split 0
		.amdhsa_exception_fp_ieee_invalid_op 0
		.amdhsa_exception_fp_denorm_src 0
		.amdhsa_exception_fp_ieee_div_zero 0
		.amdhsa_exception_fp_ieee_overflow 0
		.amdhsa_exception_fp_ieee_underflow 0
		.amdhsa_exception_fp_ieee_inexact 0
		.amdhsa_exception_int_div_zero 0
	.end_amdhsa_kernel
	.text
.Lfunc_end0:
	.size	bluestein_single_back_len352_dim1_sp_op_CI_CI, .Lfunc_end0-bluestein_single_back_len352_dim1_sp_op_CI_CI
                                        ; -- End function
	.section	.AMDGPU.csdata,"",@progbits
; Kernel info:
; codeLenInByte = 11172
; NumSgprs: 44
; NumVgprs: 188
; NumAgprs: 0
; TotalNumVgprs: 188
; ScratchSize: 0
; MemoryBound: 0
; FloatMode: 240
; IeeeMode: 1
; LDSByteSize: 5632 bytes/workgroup (compile time only)
; SGPRBlocks: 5
; VGPRBlocks: 23
; NumSGPRsForWavesPerEU: 44
; NumVGPRsForWavesPerEU: 188
; AccumOffset: 188
; Occupancy: 2
; WaveLimiterHint : 1
; COMPUTE_PGM_RSRC2:SCRATCH_EN: 0
; COMPUTE_PGM_RSRC2:USER_SGPR: 2
; COMPUTE_PGM_RSRC2:TRAP_HANDLER: 0
; COMPUTE_PGM_RSRC2:TGID_X_EN: 1
; COMPUTE_PGM_RSRC2:TGID_Y_EN: 0
; COMPUTE_PGM_RSRC2:TGID_Z_EN: 0
; COMPUTE_PGM_RSRC2:TIDIG_COMP_CNT: 0
; COMPUTE_PGM_RSRC3_GFX90A:ACCUM_OFFSET: 46
; COMPUTE_PGM_RSRC3_GFX90A:TG_SPLIT: 0
	.text
	.p2alignl 6, 3212836864
	.fill 256, 4, 3212836864
	.type	__hip_cuid_ab4d341c1bbc4517,@object ; @__hip_cuid_ab4d341c1bbc4517
	.section	.bss,"aw",@nobits
	.globl	__hip_cuid_ab4d341c1bbc4517
__hip_cuid_ab4d341c1bbc4517:
	.byte	0                               ; 0x0
	.size	__hip_cuid_ab4d341c1bbc4517, 1

	.ident	"AMD clang version 19.0.0git (https://github.com/RadeonOpenCompute/llvm-project roc-6.4.0 25133 c7fe45cf4b819c5991fe208aaa96edf142730f1d)"
	.section	".note.GNU-stack","",@progbits
	.addrsig
	.addrsig_sym __hip_cuid_ab4d341c1bbc4517
	.amdgpu_metadata
---
amdhsa.kernels:
  - .agpr_count:     0
    .args:
      - .actual_access:  read_only
        .address_space:  global
        .offset:         0
        .size:           8
        .value_kind:     global_buffer
      - .actual_access:  read_only
        .address_space:  global
        .offset:         8
        .size:           8
        .value_kind:     global_buffer
      - .actual_access:  read_only
        .address_space:  global
        .offset:         16
        .size:           8
        .value_kind:     global_buffer
      - .actual_access:  read_only
        .address_space:  global
        .offset:         24
        .size:           8
        .value_kind:     global_buffer
      - .actual_access:  read_only
        .address_space:  global
        .offset:         32
        .size:           8
        .value_kind:     global_buffer
      - .offset:         40
        .size:           8
        .value_kind:     by_value
      - .address_space:  global
        .offset:         48
        .size:           8
        .value_kind:     global_buffer
      - .address_space:  global
        .offset:         56
        .size:           8
        .value_kind:     global_buffer
      - .address_space:  global
        .offset:         64
        .size:           8
        .value_kind:     global_buffer
      - .address_space:  global
        .offset:         72
        .size:           8
        .value_kind:     global_buffer
      - .offset:         80
        .size:           4
        .value_kind:     by_value
      - .address_space:  global
        .offset:         88
        .size:           8
        .value_kind:     global_buffer
      - .address_space:  global
        .offset:         96
        .size:           8
        .value_kind:     global_buffer
    .group_segment_fixed_size: 5632
    .kernarg_segment_align: 8
    .kernarg_segment_size: 104
    .language:       OpenCL C
    .language_version:
      - 2
      - 0
    .max_flat_workgroup_size: 64
    .name:           bluestein_single_back_len352_dim1_sp_op_CI_CI
    .private_segment_fixed_size: 0
    .sgpr_count:     44
    .sgpr_spill_count: 0
    .symbol:         bluestein_single_back_len352_dim1_sp_op_CI_CI.kd
    .uniform_work_group_size: 1
    .uses_dynamic_stack: false
    .vgpr_count:     188
    .vgpr_spill_count: 0
    .wavefront_size: 64
amdhsa.target:   amdgcn-amd-amdhsa--gfx950
amdhsa.version:
  - 1
  - 2
...

	.end_amdgpu_metadata
